;; amdgpu-corpus repo=ROCm/rocFFT kind=compiled arch=gfx1201 opt=O3
	.text
	.amdgcn_target "amdgcn-amd-amdhsa--gfx1201"
	.amdhsa_code_object_version 6
	.protected	fft_rtc_fwd_len1352_factors_2_13_13_4_wgs_52_tpt_52_halfLds_half_op_CI_CI_sbrr_dirReg ; -- Begin function fft_rtc_fwd_len1352_factors_2_13_13_4_wgs_52_tpt_52_halfLds_half_op_CI_CI_sbrr_dirReg
	.globl	fft_rtc_fwd_len1352_factors_2_13_13_4_wgs_52_tpt_52_halfLds_half_op_CI_CI_sbrr_dirReg
	.p2align	8
	.type	fft_rtc_fwd_len1352_factors_2_13_13_4_wgs_52_tpt_52_halfLds_half_op_CI_CI_sbrr_dirReg,@function
fft_rtc_fwd_len1352_factors_2_13_13_4_wgs_52_tpt_52_halfLds_half_op_CI_CI_sbrr_dirReg: ; @fft_rtc_fwd_len1352_factors_2_13_13_4_wgs_52_tpt_52_halfLds_half_op_CI_CI_sbrr_dirReg
; %bb.0:
	s_clause 0x2
	s_load_b128 s[12:15], s[0:1], 0x18
	s_load_b128 s[4:7], s[0:1], 0x0
	;; [unrolled: 1-line block ×3, first 2 shown]
	v_mul_u32_u24_e32 v1, 0x4ed, v0
	v_mov_b32_e32 v3, 0
	s_wait_kmcnt 0x0
	s_load_b64 s[18:19], s[12:13], 0x0
	s_load_b64 s[16:17], s[14:15], 0x0
	v_lshrrev_b32_e32 v1, 16, v1
	v_cmp_lt_u64_e64 s2, s[6:7], 2
	s_delay_alu instid0(VALU_DEP_2)
	v_add_nc_u32_e32 v5, ttmp9, v1
	v_mov_b32_e32 v1, 0
	v_mov_b32_e32 v2, 0
	;; [unrolled: 1-line block ×3, first 2 shown]
	s_and_b32 vcc_lo, exec_lo, s2
	s_cbranch_vccnz .LBB0_8
; %bb.1:
	s_load_b64 s[2:3], s[0:1], 0x10
	v_mov_b32_e32 v1, 0
	v_mov_b32_e32 v2, 0
	s_add_nc_u64 s[20:21], s[14:15], 8
	s_add_nc_u64 s[22:23], s[12:13], 8
	s_mov_b64 s[24:25], 1
	s_delay_alu instid0(VALU_DEP_1)
	v_dual_mov_b32 v25, v2 :: v_dual_mov_b32 v24, v1
	s_wait_kmcnt 0x0
	s_add_nc_u64 s[26:27], s[2:3], 8
	s_mov_b32 s3, 0
.LBB0_2:                                ; =>This Inner Loop Header: Depth=1
	s_load_b64 s[28:29], s[26:27], 0x0
                                        ; implicit-def: $vgpr26_vgpr27
	s_mov_b32 s2, exec_lo
	s_wait_kmcnt 0x0
	v_or_b32_e32 v4, s29, v6
	s_delay_alu instid0(VALU_DEP_1)
	v_cmpx_ne_u64_e32 0, v[3:4]
	s_wait_alu 0xfffe
	s_xor_b32 s30, exec_lo, s2
	s_cbranch_execz .LBB0_4
; %bb.3:                                ;   in Loop: Header=BB0_2 Depth=1
	s_cvt_f32_u32 s2, s28
	s_cvt_f32_u32 s31, s29
	s_sub_nc_u64 s[36:37], 0, s[28:29]
	s_wait_alu 0xfffe
	s_delay_alu instid0(SALU_CYCLE_1) | instskip(SKIP_1) | instid1(SALU_CYCLE_2)
	s_fmamk_f32 s2, s31, 0x4f800000, s2
	s_wait_alu 0xfffe
	v_s_rcp_f32 s2, s2
	s_delay_alu instid0(TRANS32_DEP_1) | instskip(SKIP_1) | instid1(SALU_CYCLE_2)
	s_mul_f32 s2, s2, 0x5f7ffffc
	s_wait_alu 0xfffe
	s_mul_f32 s31, s2, 0x2f800000
	s_wait_alu 0xfffe
	s_delay_alu instid0(SALU_CYCLE_2) | instskip(SKIP_1) | instid1(SALU_CYCLE_2)
	s_trunc_f32 s31, s31
	s_wait_alu 0xfffe
	s_fmamk_f32 s2, s31, 0xcf800000, s2
	s_cvt_u32_f32 s35, s31
	s_wait_alu 0xfffe
	s_delay_alu instid0(SALU_CYCLE_1) | instskip(SKIP_1) | instid1(SALU_CYCLE_2)
	s_cvt_u32_f32 s34, s2
	s_wait_alu 0xfffe
	s_mul_u64 s[38:39], s[36:37], s[34:35]
	s_wait_alu 0xfffe
	s_mul_hi_u32 s41, s34, s39
	s_mul_i32 s40, s34, s39
	s_mul_hi_u32 s2, s34, s38
	s_mul_i32 s33, s35, s38
	s_wait_alu 0xfffe
	s_add_nc_u64 s[40:41], s[2:3], s[40:41]
	s_mul_hi_u32 s31, s35, s38
	s_mul_hi_u32 s42, s35, s39
	s_add_co_u32 s2, s40, s33
	s_wait_alu 0xfffe
	s_add_co_ci_u32 s2, s41, s31
	s_mul_i32 s38, s35, s39
	s_add_co_ci_u32 s39, s42, 0
	s_wait_alu 0xfffe
	s_add_nc_u64 s[38:39], s[2:3], s[38:39]
	s_wait_alu 0xfffe
	v_add_co_u32 v4, s2, s34, s38
	s_delay_alu instid0(VALU_DEP_1) | instskip(SKIP_1) | instid1(VALU_DEP_1)
	s_cmp_lg_u32 s2, 0
	s_add_co_ci_u32 s35, s35, s39
	v_readfirstlane_b32 s34, v4
	s_wait_alu 0xfffe
	s_delay_alu instid0(VALU_DEP_1)
	s_mul_u64 s[36:37], s[36:37], s[34:35]
	s_wait_alu 0xfffe
	s_mul_hi_u32 s39, s34, s37
	s_mul_i32 s38, s34, s37
	s_mul_hi_u32 s2, s34, s36
	s_mul_i32 s33, s35, s36
	s_wait_alu 0xfffe
	s_add_nc_u64 s[38:39], s[2:3], s[38:39]
	s_mul_hi_u32 s31, s35, s36
	s_mul_hi_u32 s34, s35, s37
	s_wait_alu 0xfffe
	s_add_co_u32 s2, s38, s33
	s_add_co_ci_u32 s2, s39, s31
	s_mul_i32 s36, s35, s37
	s_add_co_ci_u32 s37, s34, 0
	s_wait_alu 0xfffe
	s_add_nc_u64 s[36:37], s[2:3], s[36:37]
	s_wait_alu 0xfffe
	v_add_co_u32 v4, s2, v4, s36
	s_delay_alu instid0(VALU_DEP_1) | instskip(SKIP_1) | instid1(VALU_DEP_1)
	s_cmp_lg_u32 s2, 0
	s_add_co_ci_u32 s2, s35, s37
	v_mul_hi_u32 v13, v5, v4
	s_wait_alu 0xfffe
	v_mad_co_u64_u32 v[7:8], null, v5, s2, 0
	v_mad_co_u64_u32 v[9:10], null, v6, v4, 0
	;; [unrolled: 1-line block ×3, first 2 shown]
	s_delay_alu instid0(VALU_DEP_3) | instskip(SKIP_1) | instid1(VALU_DEP_4)
	v_add_co_u32 v4, vcc_lo, v13, v7
	s_wait_alu 0xfffd
	v_add_co_ci_u32_e32 v7, vcc_lo, 0, v8, vcc_lo
	s_delay_alu instid0(VALU_DEP_2) | instskip(SKIP_1) | instid1(VALU_DEP_2)
	v_add_co_u32 v4, vcc_lo, v4, v9
	s_wait_alu 0xfffd
	v_add_co_ci_u32_e32 v4, vcc_lo, v7, v10, vcc_lo
	s_wait_alu 0xfffd
	v_add_co_ci_u32_e32 v7, vcc_lo, 0, v12, vcc_lo
	s_delay_alu instid0(VALU_DEP_2) | instskip(SKIP_1) | instid1(VALU_DEP_2)
	v_add_co_u32 v4, vcc_lo, v4, v11
	s_wait_alu 0xfffd
	v_add_co_ci_u32_e32 v9, vcc_lo, 0, v7, vcc_lo
	s_delay_alu instid0(VALU_DEP_2) | instskip(SKIP_1) | instid1(VALU_DEP_3)
	v_mul_lo_u32 v10, s29, v4
	v_mad_co_u64_u32 v[7:8], null, s28, v4, 0
	v_mul_lo_u32 v11, s28, v9
	s_delay_alu instid0(VALU_DEP_2) | instskip(NEXT) | instid1(VALU_DEP_2)
	v_sub_co_u32 v7, vcc_lo, v5, v7
	v_add3_u32 v8, v8, v11, v10
	s_delay_alu instid0(VALU_DEP_1) | instskip(SKIP_1) | instid1(VALU_DEP_1)
	v_sub_nc_u32_e32 v10, v6, v8
	s_wait_alu 0xfffd
	v_subrev_co_ci_u32_e64 v10, s2, s29, v10, vcc_lo
	v_add_co_u32 v11, s2, v4, 2
	s_wait_alu 0xf1ff
	v_add_co_ci_u32_e64 v12, s2, 0, v9, s2
	v_sub_co_u32 v13, s2, v7, s28
	v_sub_co_ci_u32_e32 v8, vcc_lo, v6, v8, vcc_lo
	s_wait_alu 0xf1ff
	v_subrev_co_ci_u32_e64 v10, s2, 0, v10, s2
	s_delay_alu instid0(VALU_DEP_3) | instskip(NEXT) | instid1(VALU_DEP_3)
	v_cmp_le_u32_e32 vcc_lo, s28, v13
	v_cmp_eq_u32_e64 s2, s29, v8
	s_wait_alu 0xfffd
	v_cndmask_b32_e64 v13, 0, -1, vcc_lo
	v_cmp_le_u32_e32 vcc_lo, s29, v10
	s_wait_alu 0xfffd
	v_cndmask_b32_e64 v14, 0, -1, vcc_lo
	v_cmp_le_u32_e32 vcc_lo, s28, v7
	;; [unrolled: 3-line block ×3, first 2 shown]
	s_wait_alu 0xfffd
	v_cndmask_b32_e64 v15, 0, -1, vcc_lo
	v_cmp_eq_u32_e32 vcc_lo, s29, v10
	s_wait_alu 0xf1ff
	s_delay_alu instid0(VALU_DEP_2)
	v_cndmask_b32_e64 v7, v15, v7, s2
	s_wait_alu 0xfffd
	v_cndmask_b32_e32 v10, v14, v13, vcc_lo
	v_add_co_u32 v13, vcc_lo, v4, 1
	s_wait_alu 0xfffd
	v_add_co_ci_u32_e32 v14, vcc_lo, 0, v9, vcc_lo
	s_delay_alu instid0(VALU_DEP_3) | instskip(SKIP_1) | instid1(VALU_DEP_2)
	v_cmp_ne_u32_e32 vcc_lo, 0, v10
	s_wait_alu 0xfffd
	v_cndmask_b32_e32 v8, v14, v12, vcc_lo
	v_cndmask_b32_e32 v10, v13, v11, vcc_lo
	v_cmp_ne_u32_e32 vcc_lo, 0, v7
	s_wait_alu 0xfffd
	s_delay_alu instid0(VALU_DEP_2)
	v_dual_cndmask_b32 v27, v9, v8 :: v_dual_cndmask_b32 v26, v4, v10
.LBB0_4:                                ;   in Loop: Header=BB0_2 Depth=1
	s_wait_alu 0xfffe
	s_and_not1_saveexec_b32 s2, s30
	s_cbranch_execz .LBB0_6
; %bb.5:                                ;   in Loop: Header=BB0_2 Depth=1
	v_cvt_f32_u32_e32 v4, s28
	s_sub_co_i32 s30, 0, s28
	v_mov_b32_e32 v27, v3
	s_delay_alu instid0(VALU_DEP_2) | instskip(NEXT) | instid1(TRANS32_DEP_1)
	v_rcp_iflag_f32_e32 v4, v4
	v_mul_f32_e32 v4, 0x4f7ffffe, v4
	s_delay_alu instid0(VALU_DEP_1) | instskip(SKIP_1) | instid1(VALU_DEP_1)
	v_cvt_u32_f32_e32 v4, v4
	s_wait_alu 0xfffe
	v_mul_lo_u32 v7, s30, v4
	s_delay_alu instid0(VALU_DEP_1) | instskip(NEXT) | instid1(VALU_DEP_1)
	v_mul_hi_u32 v7, v4, v7
	v_add_nc_u32_e32 v4, v4, v7
	s_delay_alu instid0(VALU_DEP_1) | instskip(NEXT) | instid1(VALU_DEP_1)
	v_mul_hi_u32 v4, v5, v4
	v_mul_lo_u32 v7, v4, s28
	v_add_nc_u32_e32 v8, 1, v4
	s_delay_alu instid0(VALU_DEP_2) | instskip(NEXT) | instid1(VALU_DEP_1)
	v_sub_nc_u32_e32 v7, v5, v7
	v_subrev_nc_u32_e32 v9, s28, v7
	v_cmp_le_u32_e32 vcc_lo, s28, v7
	s_wait_alu 0xfffd
	s_delay_alu instid0(VALU_DEP_2) | instskip(NEXT) | instid1(VALU_DEP_1)
	v_dual_cndmask_b32 v7, v7, v9 :: v_dual_cndmask_b32 v4, v4, v8
	v_cmp_le_u32_e32 vcc_lo, s28, v7
	s_delay_alu instid0(VALU_DEP_2) | instskip(SKIP_1) | instid1(VALU_DEP_1)
	v_add_nc_u32_e32 v8, 1, v4
	s_wait_alu 0xfffd
	v_cndmask_b32_e32 v26, v4, v8, vcc_lo
.LBB0_6:                                ;   in Loop: Header=BB0_2 Depth=1
	s_wait_alu 0xfffe
	s_or_b32 exec_lo, exec_lo, s2
	v_mul_lo_u32 v4, v27, s28
	s_delay_alu instid0(VALU_DEP_2)
	v_mul_lo_u32 v9, v26, s29
	s_load_b64 s[30:31], s[22:23], 0x0
	v_mad_co_u64_u32 v[7:8], null, v26, s28, 0
	s_load_b64 s[28:29], s[20:21], 0x0
	s_add_nc_u64 s[24:25], s[24:25], 1
	s_add_nc_u64 s[20:21], s[20:21], 8
	s_wait_alu 0xfffe
	v_cmp_ge_u64_e64 s2, s[24:25], s[6:7]
	s_add_nc_u64 s[22:23], s[22:23], 8
	s_add_nc_u64 s[26:27], s[26:27], 8
	v_add3_u32 v4, v8, v9, v4
	v_sub_co_u32 v5, vcc_lo, v5, v7
	s_wait_alu 0xfffd
	s_delay_alu instid0(VALU_DEP_2) | instskip(SKIP_2) | instid1(VALU_DEP_1)
	v_sub_co_ci_u32_e32 v4, vcc_lo, v6, v4, vcc_lo
	s_and_b32 vcc_lo, exec_lo, s2
	s_wait_kmcnt 0x0
	v_mul_lo_u32 v6, s30, v4
	v_mul_lo_u32 v7, s31, v5
	v_mad_co_u64_u32 v[1:2], null, s30, v5, v[1:2]
	v_mul_lo_u32 v4, s28, v4
	v_mul_lo_u32 v8, s29, v5
	v_mad_co_u64_u32 v[24:25], null, s28, v5, v[24:25]
	s_delay_alu instid0(VALU_DEP_4) | instskip(NEXT) | instid1(VALU_DEP_2)
	v_add3_u32 v2, v7, v2, v6
	v_add3_u32 v25, v8, v25, v4
	s_wait_alu 0xfffe
	s_cbranch_vccnz .LBB0_9
; %bb.7:                                ;   in Loop: Header=BB0_2 Depth=1
	v_dual_mov_b32 v5, v26 :: v_dual_mov_b32 v6, v27
	s_branch .LBB0_2
.LBB0_8:
	s_delay_alu instid0(VALU_DEP_2) | instskip(NEXT) | instid1(VALU_DEP_2)
	v_dual_mov_b32 v25, v2 :: v_dual_mov_b32 v24, v1
	v_dual_mov_b32 v27, v6 :: v_dual_mov_b32 v26, v5
.LBB0_9:
	s_load_b64 s[0:1], s[0:1], 0x28
	v_mul_hi_u32 v56, 0x4ec4ec5, v0
	s_lshl_b64 s[6:7], s[6:7], 3
                                        ; implicit-def: $sgpr2
                                        ; implicit-def: $vgpr28
                                        ; implicit-def: $vgpr29
                                        ; implicit-def: $vgpr30
                                        ; implicit-def: $vgpr31
                                        ; implicit-def: $vgpr32
                                        ; implicit-def: $vgpr33
                                        ; implicit-def: $vgpr34
                                        ; implicit-def: $vgpr3
                                        ; implicit-def: $vgpr5
                                        ; implicit-def: $vgpr13
	s_wait_kmcnt 0x0
	v_cmp_gt_u64_e32 vcc_lo, s[0:1], v[26:27]
	v_cmp_le_u64_e64 s0, s[0:1], v[26:27]
	s_delay_alu instid0(VALU_DEP_1)
	s_and_saveexec_b32 s1, s0
	s_wait_alu 0xfffe
	s_xor_b32 s0, exec_lo, s1
	s_cbranch_execz .LBB0_11
; %bb.10:
	v_mul_u32_u24_e32 v1, 52, v56
	s_mov_b32 s2, 0
                                        ; implicit-def: $vgpr56
	s_delay_alu instid0(VALU_DEP_1) | instskip(NEXT) | instid1(VALU_DEP_1)
	v_sub_nc_u32_e32 v28, v0, v1
                                        ; implicit-def: $vgpr0
                                        ; implicit-def: $vgpr1_vgpr2
	v_add_nc_u32_e32 v29, 52, v28
	v_add_nc_u32_e32 v30, 0x68, v28
	;; [unrolled: 1-line block ×9, first 2 shown]
.LBB0_11:
	s_wait_alu 0xfffe
	s_or_saveexec_b32 s1, s0
	v_dual_mov_b32 v4, s2 :: v_dual_mov_b32 v7, s2
	v_dual_mov_b32 v8, s2 :: v_dual_mov_b32 v17, s2
	;; [unrolled: 1-line block ×6, first 2 shown]
	v_mov_b32_e32 v36, s2
	s_add_nc_u64 s[2:3], s[14:15], s[6:7]
                                        ; implicit-def: $vgpr55
                                        ; implicit-def: $vgpr12
                                        ; implicit-def: $vgpr54
                                        ; implicit-def: $vgpr11
                                        ; implicit-def: $vgpr52
                                        ; implicit-def: $vgpr10
                                        ; implicit-def: $vgpr53
                                        ; implicit-def: $vgpr9
                                        ; implicit-def: $vgpr51
                                        ; implicit-def: $vgpr21
                                        ; implicit-def: $vgpr49
                                        ; implicit-def: $vgpr20
                                        ; implicit-def: $vgpr50
                                        ; implicit-def: $vgpr19
                                        ; implicit-def: $vgpr48
                                        ; implicit-def: $vgpr18
                                        ; implicit-def: $vgpr46
                                        ; implicit-def: $vgpr22
                                        ; implicit-def: $vgpr47
                                        ; implicit-def: $vgpr23
                                        ; implicit-def: $vgpr45
                                        ; implicit-def: $vgpr40
                                        ; implicit-def: $vgpr43
                                        ; implicit-def: $vgpr41
                                        ; implicit-def: $vgpr44
                                        ; implicit-def: $vgpr42
	s_wait_alu 0xfffe
	s_xor_b32 exec_lo, exec_lo, s1
	s_cbranch_execz .LBB0_13
; %bb.12:
	s_add_nc_u64 s[6:7], s[12:13], s[6:7]
	v_mul_u32_u24_e32 v3, 52, v56
	s_load_b64 s[6:7], s[6:7], 0x0
	s_delay_alu instid0(VALU_DEP_1) | instskip(SKIP_1) | instid1(VALU_DEP_2)
	v_sub_nc_u32_e32 v28, v0, v3
	v_lshlrev_b64_e32 v[0:1], 2, v[1:2]
	v_mad_co_u64_u32 v[3:4], null, s18, v28, 0
	v_add_nc_u32_e32 v14, 0x2a4, v28
	v_add_nc_u32_e32 v29, 52, v28
	v_add_nc_u32_e32 v30, 0x68, v28
	v_or_b32_e32 v21, 0x340, v28
	v_add_nc_u32_e32 v32, 0xd0, v28
	v_mad_co_u64_u32 v[5:6], null, s18, v14, 0
	v_mov_b32_e32 v2, v4
	v_mad_co_u64_u32 v[7:8], null, s18, v29, 0
	s_wait_kmcnt 0x0
	v_mul_lo_u32 v4, s7, v26
	v_mul_lo_u32 v15, s6, v27
	v_mad_co_u64_u32 v[9:10], null, s6, v26, 0
	v_mad_co_u64_u32 v[11:12], null, s19, v28, v[2:3]
	v_dual_mov_b32 v2, v6 :: v_dual_add_nc_u32 v17, 0x2d8, v28
	v_dual_mov_b32 v6, v8 :: v_dual_add_nc_u32 v31, 0x9c, v28
	s_delay_alu instid0(VALU_DEP_4) | instskip(NEXT) | instid1(VALU_DEP_3)
	v_add3_u32 v10, v10, v15, v4
	v_mad_co_u64_u32 v[12:13], null, s18, v17, 0
	v_mov_b32_e32 v4, v11
	v_mad_co_u64_u32 v[14:15], null, s19, v14, v[2:3]
	s_delay_alu instid0(VALU_DEP_4) | instskip(SKIP_1) | instid1(VALU_DEP_4)
	v_lshlrev_b64_e32 v[8:9], 2, v[9:10]
	v_mad_co_u64_u32 v[10:11], null, s19, v29, v[6:7]
	v_lshlrev_b64_e32 v[3:4], 2, v[3:4]
	v_mov_b32_e32 v2, v13
	v_mad_co_u64_u32 v[15:16], null, s18, v30, 0
	v_add_co_u32 v11, s0, s8, v8
	s_wait_alu 0xf1ff
	v_add_co_ci_u32_e64 v9, s0, s9, v9, s0
	v_dual_mov_b32 v6, v14 :: v_dual_add_nc_u32 v33, 0x104, v28
	s_delay_alu instid0(VALU_DEP_3) | instskip(SKIP_1) | instid1(VALU_DEP_3)
	v_add_co_u32 v54, s0, v11, v0
	s_wait_alu 0xf1ff
	v_add_co_ci_u32_e64 v55, s0, v9, v1, s0
	s_delay_alu instid0(VALU_DEP_3) | instskip(NEXT) | instid1(VALU_DEP_3)
	v_lshlrev_b64_e32 v[0:1], 2, v[5:6]
	v_add_co_u32 v3, s0, v54, v3
	v_dual_mov_b32 v8, v10 :: v_dual_add_nc_u32 v23, 0x3dc, v28
	s_wait_alu 0xf1ff
	v_add_co_ci_u32_e64 v4, s0, v55, v4, s0
	s_delay_alu instid0(VALU_DEP_3) | instskip(SKIP_3) | instid1(VALU_DEP_3)
	v_mad_co_u64_u32 v[5:6], null, s19, v17, v[2:3]
	v_dual_mov_b32 v2, v16 :: v_dual_add_nc_u32 v17, 0x30c, v28
	v_lshlrev_b64_e32 v[6:7], 2, v[7:8]
	v_add_co_u32 v0, s0, v54, v0
	v_mad_co_u64_u32 v[8:9], null, s18, v17, 0
	v_mov_b32_e32 v13, v5
	v_mad_co_u64_u32 v[10:11], null, s19, v30, v[2:3]
	s_wait_alu 0xf1ff
	v_add_co_ci_u32_e64 v1, s0, v55, v1, s0
	s_delay_alu instid0(VALU_DEP_3)
	v_lshlrev_b64_e32 v[11:12], 2, v[12:13]
	v_mad_co_u64_u32 v[13:14], null, s18, v31, 0
	v_mov_b32_e32 v2, v9
	v_mov_b32_e32 v16, v10
	v_add_co_u32 v5, s0, v54, v6
	s_wait_alu 0xf1ff
	v_add_co_ci_u32_e64 v6, s0, v55, v7, s0
	v_mad_co_u64_u32 v[9:10], null, s19, v17, v[2:3]
	v_mov_b32_e32 v2, v14
	v_mad_co_u64_u32 v[17:18], null, s18, v21, 0
	v_lshlrev_b64_e32 v[15:16], 2, v[15:16]
	v_add_co_u32 v10, s0, v54, v11
	s_delay_alu instid0(VALU_DEP_4)
	v_mad_co_u64_u32 v[19:20], null, s19, v31, v[2:3]
	v_lshlrev_b64_e32 v[7:8], 2, v[8:9]
	v_mov_b32_e32 v2, v18
	s_wait_alu 0xf1ff
	v_add_co_ci_u32_e64 v11, s0, v55, v12, s0
	v_add_co_u32 v15, s0, v54, v15
	v_mov_b32_e32 v14, v19
	v_mad_co_u64_u32 v[18:19], null, s19, v21, v[2:3]
	v_mad_co_u64_u32 v[19:20], null, s18, v32, 0
	v_add_nc_u32_e32 v9, 0x374, v28
	s_wait_alu 0xf1ff
	v_add_co_ci_u32_e64 v16, s0, v55, v16, s0
	v_add_co_u32 v21, s0, v54, v7
	s_wait_alu 0xf1ff
	v_add_co_ci_u32_e64 v22, s0, v55, v8, s0
	v_lshlrev_b64_e32 v[7:8], 2, v[13:14]
	v_mad_co_u64_u32 v[13:14], null, s18, v9, 0
	v_mov_b32_e32 v2, v20
	v_lshlrev_b64_e32 v[17:18], 2, v[17:18]
	v_add_nc_u32_e32 v53, 0x1d4, v28
	s_delay_alu instid0(VALU_DEP_3)
	v_mad_co_u64_u32 v[34:35], null, s19, v32, v[2:3]
	v_add_co_u32 v35, s0, v54, v7
	v_mov_b32_e32 v2, v14
	s_wait_alu 0xf1ff
	v_add_co_ci_u32_e64 v36, s0, v55, v8, s0
	v_add_co_u32 v17, s0, v54, v17
	s_wait_alu 0xf1ff
	v_add_co_ci_u32_e64 v18, s0, v55, v18, s0
	v_mad_co_u64_u32 v[37:38], null, s19, v9, v[2:3]
	s_clause 0x7
	global_load_b32 v4, v[3:4], off
	global_load_b32 v12, v[0:1], off
	;; [unrolled: 1-line block ×8, first 2 shown]
	v_mad_co_u64_u32 v[38:39], null, s18, v33, 0
	v_mov_b32_e32 v20, v34
	v_mad_co_u64_u32 v[49:50], null, s18, v53, 0
	v_mov_b32_e32 v14, v37
	v_add_nc_u32_e32 v34, 0x138, v28
	s_delay_alu instid0(VALU_DEP_4) | instskip(SKIP_3) | instid1(VALU_DEP_3)
	v_lshlrev_b64_e32 v[1:2], 2, v[19:20]
	v_mov_b32_e32 v0, v39
	v_add_nc_u32_e32 v20, 0x3a8, v28
	v_mad_co_u64_u32 v[18:19], null, s18, v23, 0
	v_mad_co_u64_u32 v[15:16], null, s19, v33, v[0:1]
	s_delay_alu instid0(VALU_DEP_3)
	v_mad_co_u64_u32 v[16:17], null, s18, v20, 0
	v_add_co_u32 v0, s0, v54, v1
	s_wait_alu 0xf1ff
	v_add_co_ci_u32_e64 v1, s0, v55, v2, s0
	v_lshlrev_b64_e32 v[2:3], 2, v[13:14]
	v_mad_co_u64_u32 v[13:14], null, s18, v34, 0
	v_mov_b32_e32 v5, v17
	v_mov_b32_e32 v39, v15
	s_wait_loadcnt 0x1
	s_delay_alu instid0(VALU_DEP_2)
	v_mad_co_u64_u32 v[20:21], null, s19, v20, v[5:6]
	v_add_co_u32 v21, s0, v54, v2
	v_mov_b32_e32 v2, v14
	v_lshlrev_b64_e32 v[14:15], 2, v[38:39]
	s_wait_alu 0xf1ff
	v_add_co_ci_u32_e64 v22, s0, v55, v3, s0
	v_mov_b32_e32 v17, v20
	v_mov_b32_e32 v3, v19
	s_delay_alu instid0(VALU_DEP_4)
	v_add_co_u32 v35, s0, v54, v14
	s_wait_alu 0xf1ff
	v_add_co_ci_u32_e64 v36, s0, v55, v15, s0
	v_lshlrev_b64_e32 v[15:16], 2, v[16:17]
	v_add_nc_u32_e32 v17, 0x16c, v28
	v_mad_co_u64_u32 v[19:20], null, s19, v34, v[2:3]
	v_add_nc_u32_e32 v20, 0x410, v28
	v_mad_co_u64_u32 v[2:3], null, s19, v23, v[3:4]
	s_delay_alu instid0(VALU_DEP_4) | instskip(NEXT) | instid1(VALU_DEP_3)
	v_mad_co_u64_u32 v[37:38], null, s18, v17, 0
	v_mad_co_u64_u32 v[39:40], null, s18, v20, 0
	v_dual_mov_b32 v14, v19 :: v_dual_add_nc_u32 v3, 0x1a0, v28
	s_delay_alu instid0(VALU_DEP_4) | instskip(SKIP_1) | instid1(VALU_DEP_4)
	v_mov_b32_e32 v19, v2
	v_add_co_u32 v41, s0, v54, v15
	v_dual_mov_b32 v2, v38 :: v_dual_mov_b32 v5, v40
	s_wait_alu 0xf1ff
	v_add_co_ci_u32_e64 v42, s0, v55, v16, s0
	v_lshlrev_b64_e32 v[15:16], 2, v[18:19]
	s_delay_alu instid0(VALU_DEP_3) | instskip(SKIP_4) | instid1(VALU_DEP_4)
	v_mad_co_u64_u32 v[17:18], null, s19, v17, v[2:3]
	v_lshlrev_b64_e32 v[13:14], 2, v[13:14]
	v_mad_co_u64_u32 v[18:19], null, s19, v20, v[5:6]
	v_mad_co_u64_u32 v[43:44], null, s18, v3, 0
	v_add_nc_u32_e32 v5, 0x444, v28
	v_add_co_u32 v13, s0, v54, v13
	v_mov_b32_e32 v38, v17
	s_wait_alu 0xf1ff
	v_add_co_ci_u32_e64 v14, s0, v55, v14, s0
	v_mov_b32_e32 v40, v18
	v_add_co_u32 v18, s0, v54, v15
	s_wait_alu 0xf1ff
	v_add_co_ci_u32_e64 v19, s0, v55, v16, s0
	v_lshlrev_b64_e32 v[15:16], 2, v[37:38]
	v_lshlrev_b64_e32 v[37:38], 2, v[39:40]
	v_mov_b32_e32 v2, v44
	v_mad_co_u64_u32 v[45:46], null, s18, v5, 0
	v_add_nc_u32_e32 v23, 0x478, v28
	v_add_co_u32 v47, s0, v54, v15
	s_wait_alu 0xf1ff
	v_add_co_ci_u32_e64 v48, s0, v55, v16, s0
	v_add_co_u32 v37, s0, v54, v37
	s_wait_alu 0xf1ff
	v_add_co_ci_u32_e64 v38, s0, v55, v38, s0
	s_clause 0x7
	global_load_b32 v17, v[0:1], off
	global_load_b32 v21, v[21:22], off
	;; [unrolled: 1-line block ×8, first 2 shown]
	v_mad_co_u64_u32 v[39:40], null, s19, v3, v[2:3]
	v_mov_b32_e32 v2, v46
	v_mad_co_u64_u32 v[51:52], null, s18, v23, 0
	s_delay_alu instid0(VALU_DEP_3) | instskip(NEXT) | instid1(VALU_DEP_3)
	v_dual_mov_b32 v13, v50 :: v_dual_mov_b32 v44, v39
	v_mad_co_u64_u32 v[39:40], null, s19, v5, v[2:3]
	s_delay_alu instid0(VALU_DEP_3) | instskip(NEXT) | instid1(VALU_DEP_3)
	v_dual_mov_b32 v0, v52 :: v_dual_add_nc_u32 v5, 0x208, v28
	v_lshlrev_b64_e32 v[1:2], 2, v[43:44]
	s_delay_alu instid0(VALU_DEP_3) | instskip(NEXT) | instid1(VALU_DEP_2)
	v_mov_b32_e32 v46, v39
	v_mad_co_u64_u32 v[22:23], null, s19, v23, v[0:1]
	v_add_co_u32 v0, s0, v54, v1
	s_wait_alu 0xf1ff
	s_delay_alu instid0(VALU_DEP_4) | instskip(SKIP_1) | instid1(VALU_DEP_4)
	v_add_co_ci_u32_e64 v1, s0, v55, v2, s0
	v_lshlrev_b64_e32 v[35:36], 2, v[45:46]
	v_mov_b32_e32 v52, v22
	s_delay_alu instid0(VALU_DEP_2) | instskip(SKIP_1) | instid1(VALU_DEP_3)
	v_add_co_u32 v22, s0, v54, v35
	s_wait_alu 0xf1ff
	v_add_co_ci_u32_e64 v23, s0, v55, v36, s0
	s_delay_alu instid0(VALU_DEP_3)
	v_lshlrev_b64_e32 v[35:36], 2, v[51:52]
	global_load_b32 v22, v[22:23], off
	v_add_co_u32 v35, s0, v54, v35
	s_wait_alu 0xf1ff
	v_add_co_ci_u32_e64 v36, s0, v55, v36, s0
	global_load_b32 v23, v[35:36], off
	s_wait_loadcnt 0x3
	v_mad_co_u64_u32 v[37:38], null, s19, v53, v[13:14]
	v_mad_co_u64_u32 v[38:39], null, s18, v5, 0
	v_add_nc_u32_e32 v13, 0x4ac, v28
	s_delay_alu instid0(VALU_DEP_3) | instskip(NEXT) | instid1(VALU_DEP_2)
	v_dual_mov_b32 v50, v37 :: v_dual_add_nc_u32 v53, 0x23c, v28
	v_mad_co_u64_u32 v[40:41], null, s18, v13, 0
	s_delay_alu instid0(VALU_DEP_4) | instskip(NEXT) | instid1(VALU_DEP_3)
	v_mov_b32_e32 v2, v39
	v_mad_co_u64_u32 v[45:46], null, s18, v53, 0
	s_delay_alu instid0(VALU_DEP_2) | instskip(SKIP_2) | instid1(VALU_DEP_4)
	v_mad_co_u64_u32 v[42:43], null, s19, v5, v[2:3]
	v_lshlrev_b64_e32 v[43:44], 2, v[49:50]
	v_dual_mov_b32 v2, v41 :: v_dual_add_nc_u32 v49, 0x4e0, v28
	v_dual_mov_b32 v37, v46 :: v_dual_add_nc_u32 v46, 0x514, v28
	s_delay_alu instid0(VALU_DEP_2) | instskip(SKIP_1) | instid1(VALU_DEP_4)
	v_mad_co_u64_u32 v[47:48], null, s18, v49, 0
	v_mov_b32_e32 v39, v42
	v_mad_co_u64_u32 v[41:42], null, s19, v13, v[2:3]
	v_add_nc_u32_e32 v13, 0x270, v28
	v_add_co_u32 v43, s0, v54, v43
	v_mov_b32_e32 v2, v48
	v_lshlrev_b64_e32 v[35:36], 2, v[38:39]
	s_delay_alu instid0(VALU_DEP_4)
	v_mad_co_u64_u32 v[51:52], null, s18, v13, 0
	s_wait_alu 0xf1ff
	v_add_co_ci_u32_e64 v44, s0, v55, v44, s0
	v_mad_co_u64_u32 v[38:39], null, s19, v49, v[2:3]
	v_mad_co_u64_u32 v[49:50], null, s18, v46, 0
	v_lshlrev_b64_e32 v[39:40], 2, v[40:41]
	v_add_co_u32 v35, s0, v54, v35
	s_wait_alu 0xf1ff
	v_add_co_ci_u32_e64 v36, s0, v55, v36, s0
	v_mad_co_u64_u32 v[41:42], null, s19, v53, v[37:38]
	v_mov_b32_e32 v2, v50
	v_dual_mov_b32 v48, v38 :: v_dual_mov_b32 v37, v52
	v_add_co_u32 v38, s0, v54, v39
	s_delay_alu instid0(VALU_DEP_3) | instskip(SKIP_1) | instid1(VALU_DEP_4)
	v_mad_co_u64_u32 v[52:53], null, s19, v46, v[2:3]
	v_mov_b32_e32 v46, v41
	v_lshlrev_b64_e32 v[41:42], 2, v[47:48]
	s_wait_alu 0xf1ff
	v_add_co_ci_u32_e64 v39, s0, v55, v40, s0
	v_mad_co_u64_u32 v[47:48], null, s19, v13, v[37:38]
	v_mov_b32_e32 v50, v52
	s_delay_alu instid0(VALU_DEP_4)
	v_add_co_u32 v41, s0, v54, v41
	s_wait_alu 0xf1ff
	v_add_co_ci_u32_e64 v42, s0, v55, v42, s0
	global_load_b32 v40, v[38:39], off
	v_mov_b32_e32 v52, v47
	v_lshrrev_b32_e32 v53, 16, v9
	global_load_b32 v41, v[41:42], off
	v_lshlrev_b64_e32 v[37:38], 2, v[45:46]
	v_lshlrev_b64_e32 v[45:46], 2, v[49:50]
	s_delay_alu instid0(VALU_DEP_2) | instskip(SKIP_1) | instid1(VALU_DEP_3)
	v_add_co_u32 v47, s0, v54, v37
	s_wait_alu 0xf1ff
	v_add_co_ci_u32_e64 v48, s0, v55, v38, s0
	v_lshlrev_b64_e32 v[37:38], 2, v[51:52]
	s_delay_alu instid0(VALU_DEP_4) | instskip(SKIP_3) | instid1(VALU_DEP_4)
	v_add_co_u32 v45, s0, v54, v45
	s_wait_alu 0xf1ff
	v_add_co_ci_u32_e64 v46, s0, v55, v46, s0
	v_lshrrev_b32_e32 v52, 16, v10
	v_add_co_u32 v49, s0, v54, v37
	s_wait_alu 0xf1ff
	v_add_co_ci_u32_e64 v50, s0, v55, v38, s0
	s_clause 0x5
	global_load_b32 v42, v[45:46], off
	global_load_b32 v39, v[0:1], off
	;; [unrolled: 1-line block ×6, first 2 shown]
	v_lshrrev_b32_e32 v55, 16, v12
	v_lshrrev_b32_e32 v54, 16, v11
	;; [unrolled: 1-line block ×5, first 2 shown]
	s_wait_loadcnt 0xa
	v_lshrrev_b32_e32 v48, 16, v18
	s_wait_loadcnt 0x9
	v_lshrrev_b32_e32 v46, 16, v22
	;; [unrolled: 2-line block ×6, first 2 shown]
.LBB0_13:
	s_or_b32 exec_lo, exec_lo, s1
	v_lshrrev_b32_e32 v0, 16, v4
	v_sub_f16_e32 v1, v4, v12
	v_lshrrev_b32_e32 v2, 16, v8
	s_wait_loadcnt 0x4
	v_sub_f16_e32 v22, v39, v22
	v_sub_f16_e32 v11, v8, v11
	;; [unrolled: 1-line block ×3, first 2 shown]
	v_lshrrev_b32_e32 v55, 16, v7
	v_sub_f16_e32 v65, v2, v54
	v_lshrrev_b32_e32 v54, 16, v6
	v_fma_f16 v4, v4, 2.0, -v1
	v_sub_f16_e32 v10, v7, v10
	v_sub_f16_e32 v66, v55, v52
	v_lshrrev_b32_e32 v52, 16, v17
	v_sub_f16_e32 v67, v54, v53
	v_lshrrev_b32_e32 v53, 16, v15
	v_fma_f16 v8, v8, 2.0, -v11
	v_sub_f16_e32 v9, v6, v9
	v_sub_f16_e32 v70, v52, v51
	v_lshrrev_b32_e32 v51, 16, v16
	v_sub_f16_e32 v21, v17, v21
	v_sub_f16_e32 v73, v53, v50
	s_wait_loadcnt 0x3
	v_lshrrev_b32_e32 v50, 16, v38
	v_sub_f16_e32 v20, v16, v20
	v_sub_f16_e32 v72, v51, v49
	v_lshrrev_b32_e32 v49, 16, v14
	v_fma_f16 v7, v7, 2.0, -v10
	v_sub_f16_e32 v19, v15, v19
	v_lshl_add_u32 v86, v28, 2, 0
	v_pack_b32_f16 v1, v4, v1
	v_sub_f16_e32 v76, v49, v48
	v_lshrrev_b32_e32 v48, 16, v39
	v_fma_f16 v6, v6, 2.0, -v9
	v_fma_f16 v17, v17, 2.0, -v21
	v_sub_f16_e32 v18, v14, v18
	v_sub_f16_e32 v79, v50, v47
	;; [unrolled: 1-line block ×3, first 2 shown]
	v_fma_f16 v46, v39, 2.0, -v22
	s_wait_loadcnt 0x2
	v_lshrrev_b32_e32 v39, 16, v37
	v_sub_f16_e32 v47, v37, v40
	s_wait_loadcnt 0x1
	v_lshrrev_b32_e32 v40, 16, v36
	v_fma_f16 v80, v48, 2.0, -v78
	s_wait_loadcnt 0x0
	v_sub_f16_e32 v48, v35, v42
	v_sub_f16_e32 v82, v39, v45
	;; [unrolled: 1-line block ×3, first 2 shown]
	v_lshrrev_b32_e32 v41, 16, v35
	v_lshl_add_u32 v4, v29, 2, 0
	v_pack_b32_f16 v8, v8, v11
	v_fma_f16 v16, v16, 2.0, -v20
	v_sub_f16_e32 v23, v38, v23
	s_load_b64 s[2:3], s[2:3], 0x0
	v_fma_f16 v15, v15, 2.0, -v19
	v_sub_f16_e32 v85, v41, v44
	v_fma_f16 v44, v35, 2.0, -v48
	ds_store_b32 v86, v1
	ds_store_b32 v4, v8
	v_lshl_add_u32 v35, v30, 2, 0
	v_pack_b32_f16 v1, v7, v10
	v_fma_f16 v14, v14, 2.0, -v18
	v_sub_f16_e32 v84, v40, v43
	v_fma_f16 v43, v36, 2.0, -v45
	v_lshl_add_u32 v7, v31, 2, 0
	v_pack_b32_f16 v6, v6, v9
	v_lshl_add_u32 v36, v32, 2, 0
	v_pack_b32_f16 v8, v17, v21
	v_fma_f16 v38, v38, 2.0, -v23
	v_lshl_add_u32 v9, v33, 2, 0
	v_pack_b32_f16 v10, v16, v20
	v_fma_f16 v37, v37, 2.0, -v47
	v_fma_f16 v87, v41, 2.0, -v85
	ds_store_b32 v35, v1
	ds_store_b32 v7, v6
	v_lshl_add_u32 v41, v34, 2, 0
	v_pack_b32_f16 v1, v15, v19
	ds_store_b32 v36, v8
	ds_store_b32 v9, v10
	v_pack_b32_f16 v6, v14, v18
	v_lshl_add_u32 v8, v3, 2, 0
	v_pack_b32_f16 v10, v46, v22
	v_pack_b32_f16 v14, v38, v23
	ds_store_b32 v41, v1
	ds_store_b32 v86, v6 offset:1456
	v_lshlrev_b32_e32 v1, 1, v3
	v_lshl_add_u32 v3, v5, 2, 0
	v_pack_b32_f16 v6, v37, v47
	ds_store_b32 v8, v10
	ds_store_b32 v86, v14 offset:1872
	v_pack_b32_f16 v10, v43, v45
	v_fma_f16 v0, v0, 2.0, -v12
	v_lshlrev_b32_e32 v42, 1, v34
	v_fma_f16 v2, v2, 2.0, -v65
	v_fma_f16 v68, v55, 2.0, -v66
	v_lshlrev_b32_e32 v5, 1, v5
	v_fma_f16 v69, v54, 2.0, -v67
	v_lshl_add_u32 v18, v13, 2, 0
	ds_store_b32 v3, v6
	ds_store_b32 v86, v10 offset:2288
	v_lshlrev_b32_e32 v6, 1, v13
	v_fma_f16 v71, v52, 2.0, -v70
	v_fma_f16 v83, v39, 2.0, -v82
	;; [unrolled: 1-line block ×3, first 2 shown]
	v_lshlrev_b32_e32 v39, 1, v30
	v_lshlrev_b32_e32 v40, 1, v32
	v_pack_b32_f16 v14, v44, v48
	v_lshl_add_u32 v37, v28, 1, 0
	v_sub_nc_u32_e32 v48, v41, v42
	v_pack_b32_f16 v0, v0, v12
	v_fma_f16 v74, v51, 2.0, -v72
	v_fma_f16 v77, v49, 2.0, -v76
	v_sub_nc_u32_e32 v49, v8, v1
	v_pack_b32_f16 v1, v2, v65
	v_fma_f16 v75, v53, 2.0, -v73
	v_sub_nc_u32_e32 v46, v3, v5
	v_pack_b32_f16 v2, v68, v66
	v_sub_nc_u32_e32 v47, v18, v6
	v_pack_b32_f16 v5, v69, v67
	v_fma_f16 v81, v50, 2.0, -v79
	ds_store_b32 v18, v14
	global_wb scope:SCOPE_SE
	s_wait_dscnt 0x0
	s_wait_kmcnt 0x0
	s_barrier_signal -1
	s_barrier_wait -1
	global_inv scope:SCOPE_SE
	v_sub_nc_u32_e32 v43, v35, v39
	v_sub_nc_u32_e32 v44, v36, v40
	ds_load_u16 v15, v48
	ds_load_u16 v61, v49
	;; [unrolled: 1-line block ×4, first 2 shown]
	v_lshl_add_u32 v38, v29, 1, 0
	ds_load_u16 v16, v37
	ds_load_u16 v64, v37 offset:312
	ds_load_u16 v63, v37 offset:520
	;; [unrolled: 1-line block ×15, first 2 shown]
	ds_load_u16 v14, v44
	ds_load_u16 v17, v43
	;; [unrolled: 1-line block ×3, first 2 shown]
	ds_load_u16 v45, v37 offset:2600
	ds_load_u16 v56, v37 offset:2496
	;; [unrolled: 1-line block ×3, first 2 shown]
	global_wb scope:SCOPE_SE
	s_wait_dscnt 0x0
	s_barrier_signal -1
	s_barrier_wait -1
	global_inv scope:SCOPE_SE
	ds_store_b32 v86, v0
	ds_store_b32 v4, v1
	;; [unrolled: 1-line block ×4, first 2 shown]
	v_pack_b32_f16 v0, v71, v70
	v_and_b32_e32 v12, 1, v28
	v_pack_b32_f16 v1, v74, v72
	v_pack_b32_f16 v2, v75, v73
	;; [unrolled: 1-line block ×4, first 2 shown]
	ds_store_b32 v36, v0
	ds_store_b32 v9, v1
	;; [unrolled: 1-line block ×3, first 2 shown]
	ds_store_b32 v86, v4 offset:1456
	ds_store_b32 v8, v5
	v_mul_u32_u24_e32 v5, 12, v12
	v_pack_b32_f16 v0, v81, v79
	v_pack_b32_f16 v1, v83, v82
	;; [unrolled: 1-line block ×4, first 2 shown]
	v_lshlrev_b32_e32 v8, 2, v5
	ds_store_b32 v86, v0 offset:1872
	ds_store_b32 v3, v1
	ds_store_b32 v86, v2 offset:2288
	ds_store_b32 v18, v4
	global_wb scope:SCOPE_SE
	s_wait_dscnt 0x0
	s_barrier_signal -1
	s_barrier_wait -1
	global_inv scope:SCOPE_SE
	s_clause 0x2
	global_load_b128 v[0:3], v8, s[4:5]
	global_load_b128 v[4:7], v8, s[4:5] offset:16
	global_load_b128 v[8:11], v8, s[4:5] offset:32
	ds_load_u16 v81, v43
	ds_load_u16 v80, v44
	;; [unrolled: 1-line block ×6, first 2 shown]
	ds_load_u16 v78, v37 offset:520
	ds_load_u16 v77, v37 offset:728
	;; [unrolled: 1-line block ×14, first 2 shown]
	ds_load_u16 v86, v38
	ds_load_u16 v89, v37 offset:2600
	ds_load_u16 v90, v37 offset:2496
	;; [unrolled: 1-line block ×4, first 2 shown]
	ds_load_u16 v93, v37
	global_wb scope:SCOPE_SE
	s_wait_loadcnt_dscnt 0x0
	s_barrier_signal -1
	s_barrier_wait -1
	global_inv scope:SCOPE_SE
	v_cmp_gt_u32_e64 s0, 26, v28
	v_lshrrev_b32_e32 v65, 16, v0
	v_lshrrev_b32_e32 v85, 16, v1
	;; [unrolled: 1-line block ×12, first 2 shown]
	v_mul_f16_e32 v104, v81, v65
	v_mul_f16_e32 v105, v17, v65
	;; [unrolled: 1-line block ×22, first 2 shown]
	v_fma_f16 v104, v17, v0, -v104
	v_mul_f16_e32 v120, v83, v99
	v_fmac_f16_e32 v105, v81, v0
	v_mul_f16_e32 v121, v59, v99
	v_fma_f16 v106, v14, v1, -v106
	v_mul_f16_e32 v122, v69, v96
	v_mul_f16_e32 v17, v51, v96
	v_fmac_f16_e32 v107, v80, v1
	v_mul_f16_e32 v96, v70, v97
	v_mul_f16_e32 v14, v52, v97
	v_fma_f16 v97, v15, v2, -v108
	v_mul_f16_e32 v108, v84, v98
	v_mul_f16_e32 v15, v58, v98
	v_fmac_f16_e32 v109, v18, v2
	v_mul_f16_e32 v98, v82, v99
	v_mul_f16_e32 v18, v57, v99
	v_fma_f16 v99, v61, v3, -v110
	v_mul_f16_e32 v110, v75, v100
	v_fmac_f16_e32 v111, v79, v3
	v_mul_f16_e32 v123, v54, v100
	v_fma_f16 v81, v64, v0, -v112
	v_mul_f16_e32 v64, v73, v101
	v_fmac_f16_e32 v88, v92, v0
	;; [unrolled: 4-line block ×4, first 2 shown]
	v_mul_f16_e32 v63, v56, v103
	v_fma_f16 v61, v60, v3, -v94
	v_mul_f16_e32 v94, v68, v100
	v_mul_f16_e32 v60, v23, v100
	v_fmac_f16_e32 v65, v76, v3
	v_mul_f16_e32 v100, v66, v101
	v_mul_f16_e32 v76, v19, v101
	;; [unrolled: 1-line block ×6, first 2 shown]
	v_fma_f16 v55, v55, v6, -v118
	v_fmac_f16_e32 v119, v74, v6
	v_fma_f16 v3, v58, v6, -v108
	v_fmac_f16_e32 v15, v84, v6
	;; [unrolled: 2-line block ×3, first 2 shown]
	v_fmac_f16_e32 v60, v68, v8
	v_fma_f16 v68, v53, v10, -v101
	v_fma_f16 v53, v45, v11, -v102
	v_fmac_f16_e32 v80, v89, v11
	v_add_f16_e32 v11, v16, v104
	v_fmac_f16_e32 v1, v67, v10
	v_fma_f16 v67, v19, v9, -v100
	v_add_f16_e32 v19, v93, v105
	v_fma_f16 v95, v22, v4, -v95
	v_add_f16_e32 v11, v11, v106
	v_fmac_f16_e32 v115, v72, v4
	v_fma_f16 v72, v21, v5, -v116
	v_add_f16_e32 v19, v19, v107
	v_fmac_f16_e32 v117, v71, v5
	v_add_f16_e32 v11, v11, v97
	v_fma_f16 v59, v59, v7, -v120
	v_fmac_f16_e32 v121, v83, v7
	v_add_f16_e32 v19, v19, v109
	v_fma_f16 v21, v51, v4, -v122
	v_add_f16_e32 v11, v11, v99
	v_fmac_f16_e32 v17, v69, v4
	v_fma_f16 v2, v52, v5, -v96
	v_add_f16_e32 v19, v19, v111
	v_fmac_f16_e32 v14, v70, v5
	v_add_f16_e32 v11, v11, v95
	v_fma_f16 v22, v57, v7, -v98
	v_fmac_f16_e32 v18, v82, v7
	v_add_f16_e32 v19, v19, v115
	v_fma_f16 v4, v54, v8, -v110
	v_add_f16_e32 v11, v11, v72
	v_fma_f16 v5, v50, v9, -v64
	v_fmac_f16_e32 v92, v73, v9
	v_add_f16_e32 v19, v19, v117
	v_fmac_f16_e32 v76, v66, v9
	v_add_f16_e32 v11, v11, v55
	v_sub_f16_e32 v7, v105, v63
	v_sub_f16_e32 v9, v104, v6
	v_add_f16_e32 v19, v19, v119
	v_fmac_f16_e32 v123, v75, v8
	v_add_f16_e32 v11, v11, v59
	v_fma_f16 v0, v20, v10, -v0
	v_fma_f16 v64, v23, v8, -v94
	v_fmac_f16_e32 v77, v91, v10
	v_add_f16_e32 v8, v104, v6
	v_add_f16_e32 v10, v105, v63
	v_mul_f16_e32 v51, 0xb770, v7
	v_mul_f16_e32 v52, 0xba95, v7
	v_mul_f16_e32 v54, 0xbbf1, v7
	v_mul_f16_e32 v56, 0xbb7b, v7
	v_mul_f16_e32 v57, 0xb94e, v7
	v_mul_f16_e32 v7, 0xb3a8, v7
	v_mul_f16_e32 v66, 0xbbf1, v9
	v_mul_f16_e32 v70, 0xb94e, v9
	v_add_f16_e32 v19, v19, v121
	v_add_f16_e32 v11, v11, v4
	v_sub_f16_e32 v50, v106, v0
	v_mul_f16_e32 v58, 0xb770, v9
	v_mul_f16_e32 v62, 0xba95, v9
	;; [unrolled: 1-line block ×4, first 2 shown]
	v_fma_f16 v71, v8, 0x3b15, -v51
	v_fma_f16 v73, v8, 0x388b, -v52
	;; [unrolled: 1-line block ×6, first 2 shown]
	v_fmamk_f16 v89, v10, 0x2fb7, v66
	v_fmamk_f16 v91, v10, 0xb9fd, v70
	v_add_f16_e32 v19, v19, v123
	v_add_f16_e32 v11, v11, v5
	;; [unrolled: 1-line block ×3, first 2 shown]
	v_sub_f16_e32 v23, v107, v1
	v_add_f16_e32 v45, v106, v0
	v_fmac_f16_e32 v51, 0x3b15, v8
	v_fmac_f16_e32 v52, 0x388b, v8
	v_fmac_f16_e32 v54, 0x2fb7, v8
	v_fmac_f16_e32 v56, 0xb5ac, v8
	v_fmac_f16_e32 v57, 0xb9fd, v8
	v_fmac_f16_e32 v7, 0xbbc4, v8
	v_fmamk_f16 v8, v10, 0x3b15, v58
	v_fma_f16 v58, v10, 0x3b15, -v58
	v_fmamk_f16 v84, v10, 0x388b, v62
	v_fma_f16 v62, v10, 0x388b, -v62
	v_fma_f16 v66, v10, 0x2fb7, -v66
	v_fmamk_f16 v90, v10, 0xb5ac, v69
	v_fma_f16 v69, v10, 0xb5ac, -v69
	;; [unrolled: 3-line block ×3, first 2 shown]
	v_add_f16_e32 v10, v16, v71
	v_add_f16_e32 v71, v16, v73
	;; [unrolled: 1-line block ×10, first 2 shown]
	v_mul_f16_e32 v91, 0xba95, v50
	v_add_f16_e32 v8, v93, v8
	v_add_f16_e32 v19, v19, v1
	v_mul_f16_e32 v11, 0xba95, v23
	v_add_f16_e32 v1, v0, v6
	v_fmamk_f16 v6, v20, 0x388b, v91
	v_add_f16_e32 v51, v16, v51
	v_add_f16_e32 v52, v16, v52
	;; [unrolled: 1-line block ×10, first 2 shown]
	v_fma_f16 v94, v45, 0x388b, -v11
	v_add_f16_e32 v0, v19, v63
	v_mul_f16_e32 v19, 0xbb7b, v23
	v_fmac_f16_e32 v11, 0x388b, v45
	v_fma_f16 v63, v20, 0x388b, -v91
	v_add_f16_e32 v6, v6, v8
	v_mul_f16_e32 v8, 0xbb7b, v50
	v_add_f16_e32 v62, v93, v62
	v_fma_f16 v91, v45, 0xb5ac, -v19
	v_add_f16_e32 v11, v11, v51
	v_add_f16_e32 v16, v63, v16
	v_mul_f16_e32 v51, 0xb3a8, v23
	v_fmamk_f16 v63, v20, 0xb5ac, v8
	v_fma_f16 v8, v20, 0xb5ac, -v8
	v_add_f16_e32 v71, v91, v71
	v_fmac_f16_e32 v19, 0xb5ac, v45
	v_fma_f16 v91, v45, 0xbbc4, -v51
	v_add_f16_e32 v58, v63, v58
	v_mul_f16_e32 v63, 0xb3a8, v50
	v_add_f16_e32 v8, v8, v62
	v_mul_f16_e32 v62, 0x394e, v23
	v_add_f16_e32 v66, v93, v66
	v_add_f16_e32 v69, v93, v69
	v_add_f16_e32 v70, v93, v70
	v_add_f16_e32 v9, v93, v9
	v_add_f16_e32 v19, v19, v52
	v_add_f16_e32 v52, v91, v73
	v_fmamk_f16 v73, v20, 0xbbc4, v63
	v_fmac_f16_e32 v51, 0xbbc4, v45
	v_fma_f16 v63, v20, 0xbbc4, -v63
	v_fma_f16 v93, v45, 0xb9fd, -v62
	v_mul_f16_e32 v91, 0x394e, v50
	v_fmac_f16_e32 v62, 0xb9fd, v45
	v_add_f16_e32 v51, v51, v54
	v_add_f16_e32 v54, v63, v66
	;; [unrolled: 1-line block ×3, first 2 shown]
	v_mul_f16_e32 v74, 0x3bf1, v23
	v_add_f16_e32 v73, v73, v83
	v_fmamk_f16 v63, v20, 0xb9fd, v91
	v_mul_f16_e32 v83, 0x3bf1, v50
	v_add_f16_e32 v56, v62, v56
	v_fma_f16 v62, v45, 0x2fb7, -v74
	v_fmac_f16_e32 v74, 0x2fb7, v45
	v_mul_f16_e32 v23, 0x3770, v23
	v_add_f16_e32 v63, v63, v84
	v_fma_f16 v84, v20, 0xb9fd, -v91
	v_fmamk_f16 v91, v20, 0x2fb7, v83
	v_add_f16_e32 v57, v74, v57
	v_mul_f16_e32 v50, 0x3770, v50
	v_fma_f16 v74, v45, 0x3b15, -v23
	v_fmac_f16_e32 v23, 0x3b15, v45
	v_sub_f16_e32 v45, v109, v92
	v_add_f16_e32 v69, v84, v69
	v_add_f16_e32 v62, v62, v75
	;; [unrolled: 1-line block ×3, first 2 shown]
	v_fma_f16 v83, v20, 0x2fb7, -v83
	v_fmamk_f16 v84, v20, 0x3b15, v50
	v_fma_f16 v20, v20, 0x3b15, -v50
	v_add_f16_e32 v50, v97, v5
	v_mul_f16_e32 v89, 0xbbf1, v45
	v_sub_f16_e32 v5, v97, v5
	v_add_f16_e32 v10, v94, v10
	v_add_f16_e32 v70, v83, v70
	;; [unrolled: 1-line block ×4, first 2 shown]
	v_fma_f16 v83, v50, 0x2fb7, -v89
	v_mul_f16_e32 v91, 0xbbf1, v5
	v_add_f16_e32 v84, v84, v90
	v_add_f16_e32 v7, v23, v7
	;; [unrolled: 1-line block ×4, first 2 shown]
	v_fmamk_f16 v20, v82, 0x2fb7, v91
	v_mul_f16_e32 v23, 0xb3a8, v45
	v_fmac_f16_e32 v89, 0x2fb7, v50
	v_fma_f16 v83, v82, 0x2fb7, -v91
	v_mul_f16_e32 v90, 0xb3a8, v5
	v_add_f16_e32 v6, v20, v6
	v_fma_f16 v20, v50, 0xbbc4, -v23
	v_add_f16_e32 v11, v89, v11
	v_add_f16_e32 v16, v83, v16
	v_fmamk_f16 v83, v82, 0xbbc4, v90
	v_mul_f16_e32 v89, 0x3b7b, v45
	v_fmac_f16_e32 v23, 0xbbc4, v50
	v_add_f16_e32 v20, v20, v71
	v_fma_f16 v71, v82, 0xbbc4, -v90
	v_add_f16_e32 v58, v83, v58
	v_fma_f16 v83, v50, 0xb5ac, -v89
	v_mul_f16_e32 v90, 0x3b7b, v5
	v_add_f16_e32 v19, v23, v19
	v_mul_f16_e32 v23, 0x3770, v45
	v_add_f16_e32 v8, v71, v8
	v_add_f16_e32 v52, v83, v52
	v_fmamk_f16 v71, v82, 0xb5ac, v90
	v_fmac_f16_e32 v89, 0xb5ac, v50
	v_fma_f16 v83, v82, 0xb5ac, -v90
	v_fma_f16 v90, v50, 0x3b15, -v23
	v_mul_f16_e32 v91, 0x3770, v5
	v_add_f16_e32 v71, v71, v73
	v_add_f16_e32 v51, v89, v51
	;; [unrolled: 1-line block ×4, first 2 shown]
	v_fmamk_f16 v73, v82, 0x3b15, v91
	v_mul_f16_e32 v83, 0xba95, v45
	v_fmac_f16_e32 v23, 0x3b15, v50
	v_fma_f16 v89, v82, 0x3b15, -v91
	v_mul_f16_e32 v90, 0xba95, v5
	v_add_f16_e32 v63, v73, v63
	v_fma_f16 v73, v50, 0x388b, -v83
	v_add_f16_e32 v23, v23, v56
	v_add_f16_e32 v56, v89, v69
	v_fmamk_f16 v69, v82, 0x388b, v90
	v_mul_f16_e32 v45, 0xb94e, v45
	v_fmac_f16_e32 v83, 0x388b, v50
	v_add_f16_e32 v62, v73, v62
	v_fma_f16 v73, v82, 0x388b, -v90
	v_add_f16_e32 v69, v69, v75
	v_fma_f16 v75, v50, 0xb9fd, -v45
	v_mul_f16_e32 v5, 0xb94e, v5
	v_add_f16_e32 v57, v83, v57
	v_add_f16_e32 v83, v99, v4
	v_sub_f16_e32 v4, v99, v4
	v_add_f16_e32 v70, v73, v70
	v_sub_f16_e32 v73, v111, v123
	v_add_f16_e32 v74, v75, v74
	v_fmamk_f16 v75, v82, 0xb9fd, v5
	v_fmac_f16_e32 v45, 0xb9fd, v50
	v_fma_f16 v5, v82, 0xb9fd, -v5
	v_add_f16_e32 v50, v111, v123
	v_mul_f16_e32 v82, 0xbb7b, v4
	v_mul_f16_e32 v89, 0xbb7b, v73
	v_add_f16_e32 v7, v45, v7
	v_add_f16_e32 v5, v5, v9
	v_mul_f16_e32 v45, 0x394e, v73
	v_fmamk_f16 v9, v50, 0xb5ac, v82
	v_fma_f16 v90, v83, 0xb5ac, -v89
	v_fmac_f16_e32 v89, 0xb5ac, v83
	v_fma_f16 v82, v50, 0xb5ac, -v82
	v_add_f16_e32 v75, v75, v84
	v_add_f16_e32 v6, v9, v6
	v_mul_f16_e32 v9, 0x394e, v4
	v_fma_f16 v84, v83, 0xb9fd, -v45
	v_add_f16_e32 v11, v89, v11
	v_add_f16_e32 v16, v82, v16
	v_mul_f16_e32 v82, 0x3770, v73
	v_fmamk_f16 v89, v50, 0xb9fd, v9
	v_add_f16_e32 v20, v84, v20
	v_fma_f16 v9, v50, 0xb9fd, -v9
	v_fmac_f16_e32 v45, 0xb9fd, v83
	v_fma_f16 v84, v83, 0x3b15, -v82
	v_add_f16_e32 v58, v89, v58
	v_mul_f16_e32 v89, 0x3770, v4
	v_add_f16_e32 v8, v9, v8
	v_add_f16_e32 v19, v45, v19
	;; [unrolled: 1-line block ×3, first 2 shown]
	v_mul_f16_e32 v45, 0xbbf1, v73
	v_fmamk_f16 v52, v50, 0x3b15, v89
	v_fma_f16 v84, v50, 0x3b15, -v89
	v_mul_f16_e32 v89, 0xbbf1, v4
	v_add_f16_e32 v10, v90, v10
	v_fmac_f16_e32 v82, 0x3b15, v83
	v_add_f16_e32 v52, v52, v71
	v_fma_f16 v90, v83, 0x2fb7, -v45
	v_fmamk_f16 v71, v50, 0x2fb7, v89
	v_add_f16_e32 v54, v84, v54
	v_fmac_f16_e32 v45, 0x2fb7, v83
	v_fma_f16 v84, v50, 0x2fb7, -v89
	v_add_f16_e32 v51, v82, v51
	v_add_f16_e32 v63, v71, v63
	v_mul_f16_e32 v71, 0x33a8, v4
	v_mul_f16_e32 v82, 0x33a8, v73
	v_add_f16_e32 v23, v45, v23
	v_add_f16_e32 v45, v84, v56
	v_mul_f16_e32 v56, 0x3a95, v73
	v_fmamk_f16 v73, v50, 0xbbc4, v71
	v_fma_f16 v89, v83, 0xbbc4, -v82
	v_fmac_f16_e32 v82, 0xbbc4, v83
	v_fma_f16 v71, v50, 0xbbc4, -v71
	v_fma_f16 v84, v83, 0x388b, -v56
	v_add_f16_e32 v69, v73, v69
	v_mul_f16_e32 v4, 0x3a95, v4
	v_sub_f16_e32 v73, v115, v121
	v_add_f16_e32 v57, v82, v57
	v_add_f16_e32 v70, v71, v70
	;; [unrolled: 1-line block ×3, first 2 shown]
	v_fmamk_f16 v74, v50, 0x388b, v4
	v_add_f16_e32 v82, v95, v59
	v_sub_f16_e32 v59, v95, v59
	v_fmac_f16_e32 v56, 0x388b, v83
	v_mul_f16_e32 v83, 0xb94e, v73
	v_fma_f16 v4, v50, 0x388b, -v4
	v_add_f16_e32 v50, v115, v121
	v_mul_f16_e32 v84, 0xb94e, v59
	v_add_f16_e32 v74, v74, v75
	v_fma_f16 v75, v82, 0xb9fd, -v83
	v_add_f16_e32 v7, v56, v7
	v_add_f16_e32 v4, v4, v5
	v_fmamk_f16 v5, v50, 0xb9fd, v84
	v_mul_f16_e32 v56, 0x3bf1, v73
	v_add_f16_e32 v10, v75, v10
	v_fmac_f16_e32 v83, 0xb9fd, v82
	v_fma_f16 v75, v50, 0xb9fd, -v84
	v_mul_f16_e32 v84, 0x3bf1, v59
	v_add_f16_e32 v62, v89, v62
	v_fma_f16 v89, v82, 0x2fb7, -v56
	v_add_f16_e32 v5, v5, v6
	v_add_f16_e32 v6, v83, v11
	;; [unrolled: 1-line block ×3, first 2 shown]
	v_fmamk_f16 v16, v50, 0x2fb7, v84
	v_mul_f16_e32 v75, 0xba95, v73
	v_fmac_f16_e32 v56, 0x2fb7, v82
	v_fma_f16 v83, v50, 0x2fb7, -v84
	v_mul_f16_e32 v84, 0xba95, v59
	v_add_f16_e32 v16, v16, v58
	v_fma_f16 v58, v82, 0x388b, -v75
	v_add_f16_e32 v19, v56, v19
	v_add_f16_e32 v8, v83, v8
	v_fmamk_f16 v56, v50, 0x388b, v84
	v_mul_f16_e32 v83, 0x33a8, v73
	v_add_f16_e32 v66, v90, v66
	v_add_f16_e32 v9, v58, v9
	v_fma_f16 v58, v50, 0x388b, -v84
	v_add_f16_e32 v56, v56, v52
	v_fma_f16 v52, v82, 0xbbc4, -v83
	v_mul_f16_e32 v84, 0x33a8, v59
	v_add_f16_e32 v20, v89, v20
	v_add_f16_e32 v58, v58, v54
	v_fmac_f16_e32 v83, 0xbbc4, v82
	v_add_f16_e32 v66, v52, v66
	v_fmamk_f16 v52, v50, 0xbbc4, v84
	v_fma_f16 v54, v50, 0xbbc4, -v84
	v_mul_f16_e32 v89, 0x3770, v59
	v_fmac_f16_e32 v75, 0x388b, v82
	v_add_f16_e32 v23, v83, v23
	v_add_f16_e32 v63, v52, v63
	;; [unrolled: 1-line block ×3, first 2 shown]
	v_fmamk_f16 v45, v50, 0x3b15, v89
	v_mul_f16_e32 v52, 0xbb7b, v73
	v_mul_f16_e32 v54, 0xbb7b, v59
	v_add_f16_e32 v75, v75, v51
	v_mul_f16_e32 v51, 0x3770, v73
	v_fma_f16 v59, v50, 0x3b15, -v89
	v_add_f16_e32 v69, v45, v69
	v_fma_f16 v45, v82, 0xb5ac, -v52
	v_fmamk_f16 v73, v50, 0xb5ac, v54
	v_sub_f16_e32 v89, v117, v119
	v_fmac_f16_e32 v52, 0xb5ac, v82
	v_fma_f16 v84, v82, 0x3b15, -v51
	v_add_f16_e32 v71, v45, v71
	v_add_f16_e32 v73, v73, v74
	v_add_f16_e32 v74, v72, v55
	v_mul_f16_e32 v45, 0xb3a8, v89
	v_fmac_f16_e32 v51, 0x3b15, v82
	v_sub_f16_e32 v72, v72, v55
	v_fma_f16 v50, v50, 0xb5ac, -v54
	v_add_f16_e32 v90, v52, v7
	v_fma_f16 v54, v74, 0xbbc4, -v45
	v_mul_f16_e32 v52, 0x3770, v89
	v_add_f16_e32 v62, v84, v62
	v_add_f16_e32 v84, v51, v57
	;; [unrolled: 1-line block ×3, first 2 shown]
	v_mul_f16_e32 v51, 0xb3a8, v72
	v_add_f16_e32 v91, v50, v4
	v_add_f16_e32 v50, v54, v10
	v_fma_f16 v10, v74, 0x3b15, -v52
	v_fmac_f16_e32 v45, 0xbbc4, v74
	v_fmamk_f16 v4, v82, 0xbbc4, v51
	v_fma_f16 v7, v82, 0xbbc4, -v51
	v_mul_f16_e32 v54, 0x3770, v72
	v_add_f16_e32 v51, v10, v20
	v_mul_f16_e32 v10, 0xb94e, v89
	v_add_f16_e32 v5, v4, v5
	v_add_f16_e32 v45, v45, v6
	;; [unrolled: 1-line block ×3, first 2 shown]
	v_fmamk_f16 v6, v82, 0x3b15, v54
	v_mul_f16_e32 v11, 0xb94e, v72
	v_fma_f16 v20, v82, 0x3b15, -v54
	v_fma_f16 v54, v74, 0xb9fd, -v10
	v_fmac_f16_e32 v52, 0x3b15, v74
	v_add_f16_e32 v7, v6, v16
	v_fmamk_f16 v16, v82, 0xb9fd, v11
	v_fmac_f16_e32 v10, 0xb9fd, v74
	v_add_f16_e32 v54, v54, v9
	v_fma_f16 v9, v82, 0xb9fd, -v11
	v_mul_f16_e32 v11, 0x3a95, v89
	v_add_f16_e32 v52, v52, v19
	v_add_f16_e32 v6, v20, v8
	;; [unrolled: 1-line block ×3, first 2 shown]
	v_mul_f16_e32 v16, 0x3a95, v72
	v_add_f16_e32 v55, v10, v75
	v_add_f16_e32 v10, v13, v81
	v_fma_f16 v19, v74, 0x388b, -v11
	v_add_f16_e32 v56, v86, v88
	v_add_f16_e32 v9, v9, v58
	v_fmamk_f16 v20, v82, 0x388b, v16
	v_add_f16_e32 v58, v10, v79
	v_fmac_f16_e32 v11, 0x388b, v74
	v_add_f16_e32 v57, v19, v66
	v_add_f16_e32 v19, v56, v87
	;; [unrolled: 1-line block ×5, first 2 shown]
	v_fma_f16 v11, v82, 0x388b, -v16
	v_mul_f16_e32 v23, 0xbb7b, v89
	v_add_f16_e32 v16, v19, v85
	v_add_f16_e32 v19, v20, v61
	v_mul_f16_e32 v20, 0xbb7b, v72
	v_add_f16_e32 v70, v59, v70
	v_fma_f16 v58, v74, 0xb5ac, -v23
	v_add_f16_e32 v16, v16, v65
	v_add_f16_e32 v19, v19, v21
	v_fmamk_f16 v59, v82, 0xb5ac, v20
	v_fmac_f16_e32 v23, 0xb5ac, v74
	v_add_f16_e32 v58, v58, v62
	v_add_f16_e32 v62, v16, v17
	;; [unrolled: 1-line block ×5, first 2 shown]
	v_mul_f16_e32 v23, 0x3bf1, v89
	v_add_f16_e32 v62, v62, v14
	v_add_f16_e32 v19, v19, v3
	v_mul_f16_e32 v63, 0x3bf1, v72
	v_fma_f16 v20, v82, 0xb5ac, -v20
	v_fma_f16 v66, v74, 0x2fb7, -v23
	v_add_f16_e32 v69, v62, v15
	v_add_f16_e32 v72, v19, v22
	v_fmac_f16_e32 v23, 0x2fb7, v74
	v_add_f16_e32 v19, v20, v70
	v_add_f16_e32 v62, v66, v71
	;; [unrolled: 1-line block ×4, first 2 shown]
	v_fmamk_f16 v20, v82, 0x2fb7, v63
	v_fma_f16 v70, v82, 0x2fb7, -v63
	v_sub_f16_e32 v71, v88, v80
	v_add_f16_e32 v66, v66, v60
	v_add_f16_e32 v69, v69, v67
	v_add_f16_e32 v20, v20, v73
	v_add_f16_e32 v63, v23, v90
	v_add_f16_e32 v23, v70, v91
	v_add_f16_e32 v66, v66, v76
	v_add_f16_e32 v69, v69, v68
	v_add_f16_e32 v70, v81, v53
	v_mul_f16_e32 v72, 0xb770, v71
	v_sub_f16_e32 v73, v81, v53
	v_add_f16_e32 v74, v66, v77
	v_add_f16_e32 v66, v69, v53
	v_add_f16_e32 v69, v88, v80
	v_mul_f16_e32 v82, 0xbbf1, v71
	v_mul_f16_e32 v84, 0xb94e, v71
	v_add_f16_e32 v53, v74, v80
	v_mul_f16_e32 v80, 0xbb7b, v71
	v_add_f16_e32 v11, v11, v83
	v_mul_f16_e32 v75, 0xba95, v71
	v_fma_f16 v81, v70, 0x3b15, -v72
	v_fma_f16 v83, v70, 0x2fb7, -v82
	v_mul_f16_e32 v71, 0xb3a8, v71
	v_fma_f16 v88, v70, 0xb5ac, -v80
	v_fma_f16 v89, v70, 0xb9fd, -v84
	v_fmac_f16_e32 v72, 0x3b15, v70
	v_fma_f16 v74, v70, 0x388b, -v75
	v_fmac_f16_e32 v75, 0x388b, v70
	v_fmac_f16_e32 v82, 0x2fb7, v70
	;; [unrolled: 1-line block ×4, first 2 shown]
	v_fma_f16 v90, v70, 0xbbc4, -v71
	v_fmac_f16_e32 v71, 0xbbc4, v70
	v_add_f16_e32 v70, v13, v81
	v_add_f16_e32 v81, v13, v83
	;; [unrolled: 1-line block ×4, first 2 shown]
	v_mul_f16_e32 v89, 0xb770, v73
	v_mul_f16_e32 v91, 0xba95, v73
	v_mul_f16_e32 v92, 0xbbf1, v73
	v_add_f16_e32 v72, v13, v72
	v_add_f16_e32 v74, v13, v74
	;; [unrolled: 1-line block ×8, first 2 shown]
	v_fmamk_f16 v71, v69, 0x3b15, v89
	v_fma_f16 v89, v69, 0x3b15, -v89
	v_fmamk_f16 v93, v69, 0x388b, v91
	v_mul_f16_e32 v94, 0xbb7b, v73
	v_fmamk_f16 v95, v69, 0x2fb7, v92
	v_mul_f16_e32 v96, 0xb94e, v73
	v_mul_f16_e32 v73, 0xb3a8, v73
	v_fma_f16 v91, v69, 0x388b, -v91
	v_fma_f16 v92, v69, 0x2fb7, -v92
	v_fmamk_f16 v97, v69, 0xb5ac, v94
	v_fma_f16 v94, v69, 0xb5ac, -v94
	v_fmamk_f16 v98, v69, 0xb9fd, v96
	;; [unrolled: 2-line block ×3, first 2 shown]
	v_fma_f16 v69, v69, 0xbbc4, -v73
	v_add_f16_e32 v73, v86, v89
	v_add_f16_e32 v89, v86, v93
	;; [unrolled: 1-line block ×3, first 2 shown]
	v_sub_f16_e32 v95, v87, v77
	v_add_f16_e32 v100, v79, v68
	v_sub_f16_e32 v68, v79, v68
	v_add_f16_e32 v77, v87, v77
	v_add_f16_e32 v71, v86, v71
	v_mul_f16_e32 v79, 0xba95, v95
	v_add_f16_e32 v91, v86, v91
	v_mul_f16_e32 v87, 0xba95, v68
	v_add_f16_e32 v92, v86, v92
	v_add_f16_e32 v97, v86, v97
	;; [unrolled: 1-line block ×4, first 2 shown]
	v_fma_f16 v101, v100, 0x388b, -v79
	v_add_f16_e32 v96, v86, v96
	v_add_f16_e32 v99, v86, v99
	;; [unrolled: 1-line block ×3, first 2 shown]
	v_fmamk_f16 v86, v77, 0x388b, v87
	v_add_f16_e32 v70, v101, v70
	v_mul_f16_e32 v101, 0xbb7b, v95
	v_fmac_f16_e32 v79, 0x388b, v100
	v_fma_f16 v87, v77, 0x388b, -v87
	v_add_f16_e32 v71, v86, v71
	v_mul_f16_e32 v86, 0xbb7b, v68
	v_fma_f16 v102, v100, 0xb5ac, -v101
	v_add_f16_e32 v72, v79, v72
	v_add_f16_e32 v73, v87, v73
	v_mul_f16_e32 v79, 0xb3a8, v95
	v_fmamk_f16 v87, v77, 0xb5ac, v86
	v_add_f16_e32 v74, v102, v74
	v_fmac_f16_e32 v101, 0xb5ac, v100
	v_fma_f16 v86, v77, 0xb5ac, -v86
	v_fma_f16 v102, v100, 0xbbc4, -v79
	v_add_f16_e32 v87, v87, v89
	v_mul_f16_e32 v89, 0xb3a8, v68
	v_add_f16_e32 v75, v101, v75
	v_add_f16_e32 v86, v86, v91
	;; [unrolled: 1-line block ×3, first 2 shown]
	v_mul_f16_e32 v91, 0x394e, v95
	v_fmamk_f16 v101, v77, 0xbbc4, v89
	v_fmac_f16_e32 v79, 0xbbc4, v100
	v_fma_f16 v89, v77, 0xbbc4, -v89
	v_mul_f16_e32 v102, 0x394e, v68
	v_fma_f16 v103, v100, 0xb9fd, -v91
	v_add_f16_e32 v93, v101, v93
	v_add_f16_e32 v79, v79, v82
	;; [unrolled: 1-line block ×3, first 2 shown]
	v_fmamk_f16 v89, v77, 0xb9fd, v102
	v_fmac_f16_e32 v91, 0xb9fd, v100
	v_mul_f16_e32 v92, 0x3bf1, v95
	v_mul_f16_e32 v101, 0x3bf1, v68
	;; [unrolled: 1-line block ×3, first 2 shown]
	v_add_f16_e32 v89, v89, v97
	v_fma_f16 v97, v77, 0xb9fd, -v102
	v_add_f16_e32 v80, v91, v80
	v_fma_f16 v91, v100, 0x2fb7, -v92
	v_fmamk_f16 v102, v77, 0x2fb7, v101
	v_fmac_f16_e32 v92, 0x2fb7, v100
	v_mul_f16_e32 v68, 0x3770, v68
	v_add_f16_e32 v94, v97, v94
	v_add_f16_e32 v88, v91, v88
	;; [unrolled: 1-line block ×3, first 2 shown]
	v_sub_f16_e32 v98, v85, v76
	v_add_f16_e32 v84, v92, v84
	v_fma_f16 v92, v100, 0x3b15, -v95
	v_fmac_f16_e32 v95, 0x3b15, v100
	v_fma_f16 v97, v77, 0x2fb7, -v101
	v_fmamk_f16 v100, v77, 0x3b15, v68
	v_fma_f16 v68, v77, 0x3b15, -v68
	v_add_f16_e32 v77, v78, v67
	v_sub_f16_e32 v67, v78, v67
	v_mul_f16_e32 v78, 0xbbf1, v98
	v_add_f16_e32 v90, v92, v90
	v_add_f16_e32 v76, v85, v76
	;; [unrolled: 1-line block ×3, first 2 shown]
	v_mul_f16_e32 v85, 0xbbf1, v67
	v_fma_f16 v92, v77, 0x2fb7, -v78
	v_fmac_f16_e32 v78, 0x2fb7, v77
	v_add_f16_e32 v13, v95, v13
	v_add_f16_e32 v96, v97, v96
	v_fmamk_f16 v69, v76, 0x2fb7, v85
	v_add_f16_e32 v70, v92, v70
	v_mul_f16_e32 v92, 0xb3a8, v98
	v_fma_f16 v85, v76, 0x2fb7, -v85
	v_add_f16_e32 v72, v78, v72
	v_add_f16_e32 v69, v69, v71
	v_mul_f16_e32 v71, 0xb3a8, v67
	v_fma_f16 v95, v77, 0xbbc4, -v92
	v_mul_f16_e32 v78, 0x3b7b, v98
	v_add_f16_e32 v73, v85, v73
	v_fmac_f16_e32 v92, 0xbbc4, v77
	v_fmamk_f16 v85, v76, 0xbbc4, v71
	v_add_f16_e32 v74, v95, v74
	v_fma_f16 v95, v77, 0xb5ac, -v78
	v_fma_f16 v71, v76, 0xbbc4, -v71
	v_fmac_f16_e32 v78, 0xb5ac, v77
	v_add_f16_e32 v85, v85, v87
	v_mul_f16_e32 v87, 0x3b7b, v67
	v_add_f16_e32 v81, v95, v81
	v_mul_f16_e32 v95, 0x3770, v67
	v_add_f16_e32 v75, v92, v75
	v_add_f16_e32 v71, v71, v86
	v_mul_f16_e32 v86, 0x3770, v98
	v_fmamk_f16 v92, v76, 0xb5ac, v87
	v_fma_f16 v87, v76, 0xb5ac, -v87
	v_add_f16_e32 v78, v78, v79
	v_fmamk_f16 v79, v76, 0x3b15, v95
	v_add_f16_e32 v97, v100, v99
	v_fma_f16 v99, v77, 0x3b15, -v86
	v_add_f16_e32 v92, v92, v93
	v_add_f16_e32 v82, v87, v82
	v_fmac_f16_e32 v86, 0x3b15, v77
	v_fma_f16 v87, v76, 0x3b15, -v95
	v_add_f16_e32 v79, v79, v89
	v_mul_f16_e32 v89, 0xba95, v98
	v_mul_f16_e32 v93, 0xba95, v67
	v_add_f16_e32 v80, v86, v80
	v_add_f16_e32 v86, v87, v94
	v_mul_f16_e32 v87, 0xb94e, v98
	v_fma_f16 v94, v77, 0x388b, -v89
	v_fmamk_f16 v95, v76, 0x388b, v93
	v_fmac_f16_e32 v89, 0x388b, v77
	v_fma_f16 v93, v76, 0x388b, -v93
	v_fma_f16 v98, v77, 0xb9fd, -v87
	v_mul_f16_e32 v67, 0xb94e, v67
	v_fmac_f16_e32 v87, 0xb9fd, v77
	v_add_f16_e32 v84, v89, v84
	v_add_f16_e32 v89, v93, v96
	v_sub_f16_e32 v93, v65, v60
	v_add_f16_e32 v77, v61, v64
	v_sub_f16_e32 v61, v61, v64
	v_add_f16_e32 v88, v94, v88
	v_fmamk_f16 v94, v76, 0xb9fd, v67
	v_mul_f16_e32 v64, 0xbb7b, v93
	v_fma_f16 v67, v76, 0xb9fd, -v67
	v_add_f16_e32 v60, v65, v60
	v_mul_f16_e32 v65, 0xbb7b, v61
	v_add_f16_e32 v13, v87, v13
	v_fma_f16 v76, v77, 0xb5ac, -v64
	v_add_f16_e32 v67, v67, v68
	v_fmac_f16_e32 v64, 0xb5ac, v77
	v_fmamk_f16 v68, v60, 0xb5ac, v65
	v_fma_f16 v65, v60, 0xb5ac, -v65
	v_add_f16_e32 v70, v76, v70
	v_mul_f16_e32 v76, 0x394e, v93
	v_add_f16_e32 v64, v64, v72
	v_add_f16_e32 v68, v68, v69
	v_mul_f16_e32 v69, 0x394e, v61
	v_add_f16_e32 v65, v65, v73
	v_fma_f16 v87, v77, 0xb9fd, -v76
	v_mul_f16_e32 v72, 0x3770, v93
	v_fmac_f16_e32 v76, 0xb9fd, v77
	v_fmamk_f16 v73, v60, 0xb9fd, v69
	v_fma_f16 v69, v60, 0xb9fd, -v69
	v_add_f16_e32 v74, v87, v74
	v_fma_f16 v87, v77, 0x3b15, -v72
	v_add_f16_e32 v75, v76, v75
	v_add_f16_e32 v73, v73, v85
	v_mul_f16_e32 v85, 0x3770, v61
	v_add_f16_e32 v69, v69, v71
	v_add_f16_e32 v71, v87, v81
	v_mul_f16_e32 v76, 0xbbf1, v93
	v_fmac_f16_e32 v72, 0x3b15, v77
	v_fmamk_f16 v81, v60, 0x3b15, v85
	v_fma_f16 v85, v60, 0x3b15, -v85
	v_mul_f16_e32 v87, 0xbbf1, v61
	v_add_f16_e32 v91, v95, v91
	v_fma_f16 v95, v77, 0x2fb7, -v76
	v_add_f16_e32 v72, v72, v78
	v_add_f16_e32 v78, v85, v82
	v_fmamk_f16 v82, v60, 0x2fb7, v87
	v_fmac_f16_e32 v76, 0x2fb7, v77
	v_fma_f16 v85, v60, 0x2fb7, -v87
	v_mul_f16_e32 v87, 0x33a8, v93
	v_add_f16_e32 v81, v81, v92
	v_add_f16_e32 v79, v82, v79
	v_mul_f16_e32 v82, 0x33a8, v61
	v_add_f16_e32 v76, v76, v80
	v_add_f16_e32 v80, v85, v86
	v_fma_f16 v85, v77, 0xbbc4, -v87
	v_fmac_f16_e32 v87, 0xbbc4, v77
	v_fmamk_f16 v92, v60, 0xbbc4, v82
	v_fma_f16 v82, v60, 0xbbc4, -v82
	v_mul_f16_e32 v86, 0x3a95, v93
	v_mul_f16_e32 v61, 0x3a95, v61
	v_add_f16_e32 v84, v87, v84
	v_sub_f16_e32 v87, v17, v18
	v_add_f16_e32 v82, v82, v89
	v_add_f16_e32 v89, v21, v22
	v_sub_f16_e32 v21, v21, v22
	v_add_f16_e32 v85, v85, v88
	v_mul_f16_e32 v22, 0xb94e, v87
	v_fma_f16 v88, v77, 0x388b, -v86
	v_fmac_f16_e32 v86, 0x388b, v77
	v_fmamk_f16 v77, v60, 0x388b, v61
	v_fma_f16 v60, v60, 0x388b, -v61
	v_add_f16_e32 v17, v17, v18
	v_fma_f16 v18, v89, 0xb9fd, -v22
	v_mul_f16_e32 v61, 0xb94e, v21
	v_add_f16_e32 v13, v86, v13
	v_add_f16_e32 v60, v60, v67
	v_fmac_f16_e32 v22, 0xb9fd, v89
	v_add_f16_e32 v18, v18, v70
	v_fmamk_f16 v67, v17, 0xb9fd, v61
	v_mul_f16_e32 v70, 0x3bf1, v87
	v_fma_f16 v61, v17, 0xb9fd, -v61
	v_mul_f16_e32 v86, 0x3bf1, v21
	v_add_f16_e32 v83, v103, v83
	v_add_f16_e32 v67, v67, v68
	v_fma_f16 v68, v89, 0x2fb7, -v70
	v_add_f16_e32 v22, v22, v64
	v_add_f16_e32 v61, v61, v65
	v_fmamk_f16 v64, v17, 0x2fb7, v86
	v_mul_f16_e32 v65, 0xba95, v87
	v_add_f16_e32 v68, v68, v74
	v_fma_f16 v74, v17, 0x2fb7, -v86
	v_add_f16_e32 v83, v99, v83
	v_add_f16_e32 v90, v98, v90
	v_fmac_f16_e32 v70, 0x2fb7, v89
	v_add_f16_e32 v64, v64, v73
	v_fma_f16 v73, v89, 0x388b, -v65
	v_mul_f16_e32 v86, 0xba95, v21
	v_add_f16_e32 v69, v74, v69
	v_mul_f16_e32 v74, 0x33a8, v87
	v_add_f16_e32 v83, v95, v83
	v_add_f16_e32 v88, v88, v90
	;; [unrolled: 1-line block ×4, first 2 shown]
	v_fmamk_f16 v73, v17, 0x388b, v86
	v_fmac_f16_e32 v65, 0x388b, v89
	v_fma_f16 v75, v17, 0x388b, -v86
	v_fma_f16 v86, v89, 0xbbc4, -v74
	v_mul_f16_e32 v90, 0x33a8, v21
	v_add_f16_e32 v73, v73, v81
	v_add_f16_e32 v65, v65, v72
	v_add_f16_e32 v72, v75, v78
	v_add_f16_e32 v75, v86, v83
	v_fmac_f16_e32 v74, 0xbbc4, v89
	v_mul_f16_e32 v81, 0x3770, v87
	v_fma_f16 v86, v17, 0xbbc4, -v90
	v_fmamk_f16 v78, v17, 0xbbc4, v90
	v_mul_f16_e32 v83, 0x3770, v21
	v_add_f16_e32 v74, v74, v76
	v_fma_f16 v76, v89, 0x3b15, -v81
	v_add_f16_e32 v80, v86, v80
	v_mul_f16_e32 v86, 0xbb7b, v87
	v_fmac_f16_e32 v81, 0x3b15, v89
	v_add_f16_e32 v78, v78, v79
	v_fmamk_f16 v79, v17, 0x3b15, v83
	v_add_f16_e32 v76, v76, v85
	v_fma_f16 v83, v17, 0x3b15, -v83
	v_fma_f16 v85, v89, 0xb5ac, -v86
	v_add_f16_e32 v81, v81, v84
	v_sub_f16_e32 v84, v14, v15
	v_add_f16_e32 v94, v94, v97
	v_mul_f16_e32 v21, 0xbb7b, v21
	v_add_f16_e32 v82, v83, v82
	v_add_f16_e32 v83, v85, v88
	;; [unrolled: 1-line block ×3, first 2 shown]
	v_mul_f16_e32 v87, 0xb3a8, v84
	v_sub_f16_e32 v2, v2, v3
	v_add_f16_e32 v77, v77, v94
	v_fmamk_f16 v3, v17, 0xb5ac, v21
	v_fma_f16 v17, v17, 0xb5ac, -v21
	v_add_f16_e32 v14, v14, v15
	v_fma_f16 v15, v85, 0xbbc4, -v87
	v_mul_f16_e32 v21, 0xb3a8, v2
	v_fmac_f16_e32 v86, 0xb5ac, v89
	v_add_f16_e32 v3, v3, v77
	v_add_f16_e32 v17, v17, v60
	v_add_f16_e32 v15, v15, v18
	v_fmamk_f16 v18, v14, 0xbbc4, v21
	v_mul_f16_e32 v60, 0x3770, v84
	v_fma_f16 v21, v14, 0xbbc4, -v21
	v_mul_f16_e32 v77, 0x3770, v2
	v_add_f16_e32 v13, v86, v13
	v_fmac_f16_e32 v87, 0xbbc4, v85
	v_add_f16_e32 v18, v18, v67
	v_fma_f16 v67, v85, 0x3b15, -v60
	v_add_f16_e32 v21, v21, v61
	v_fmamk_f16 v61, v14, 0x3b15, v77
	v_mul_f16_e32 v86, 0xb94e, v84
	v_add_f16_e32 v22, v87, v22
	v_add_f16_e32 v67, v67, v68
	v_fma_f16 v68, v14, 0x3b15, -v77
	v_add_f16_e32 v87, v61, v64
	v_fma_f16 v61, v85, 0xb9fd, -v86
	v_mul_f16_e32 v64, 0xb94e, v2
	v_fmac_f16_e32 v60, 0x3b15, v85
	v_add_f16_e32 v88, v68, v69
	v_mul_f16_e32 v68, 0x3a95, v84
	v_add_f16_e32 v61, v61, v71
	v_fmamk_f16 v69, v14, 0xb9fd, v64
	v_fmac_f16_e32 v86, 0xb9fd, v85
	v_fma_f16 v64, v14, 0xb9fd, -v64
	v_mul_f16_e32 v71, 0x3a95, v2
	v_add_f16_e32 v91, v92, v91
	v_add_f16_e32 v60, v60, v70
	v_fma_f16 v70, v85, 0x388b, -v68
	v_add_f16_e32 v89, v69, v73
	v_add_f16_e32 v65, v86, v65
	;; [unrolled: 1-line block ×3, first 2 shown]
	v_fmamk_f16 v69, v14, 0x388b, v71
	v_mul_f16_e32 v72, 0xbb7b, v2
	v_fma_f16 v71, v14, 0x388b, -v71
	v_add_f16_e32 v79, v79, v91
	v_add_f16_e32 v64, v70, v75
	v_mul_f16_e32 v70, 0xbb7b, v84
	v_fmamk_f16 v73, v14, 0xb5ac, v72
	v_add_f16_e32 v80, v71, v80
	v_mul_f16_e32 v71, 0x3bf1, v84
	v_fmac_f16_e32 v68, 0x388b, v85
	v_add_f16_e32 v90, v69, v78
	v_fma_f16 v69, v85, 0xb5ac, -v70
	v_add_f16_e32 v84, v73, v79
	v_fmac_f16_e32 v70, 0xb5ac, v85
	v_fma_f16 v72, v14, 0xb5ac, -v72
	v_fma_f16 v73, v85, 0x2fb7, -v71
	v_mul_f16_e32 v2, 0x3bf1, v2
	v_add_f16_e32 v68, v68, v74
	v_lshrrev_b32_e32 v74, 1, v28
	v_add_f16_e32 v70, v70, v81
	v_add_f16_e32 v81, v72, v82
	;; [unrolled: 1-line block ×3, first 2 shown]
	v_fmamk_f16 v73, v14, 0x2fb7, v2
	v_lshrrev_b32_e32 v75, 1, v29
	v_mul_u32_u24_e32 v74, 26, v74
	v_fma_f16 v2, v14, 0x2fb7, -v2
	v_fmac_f16_e32 v71, 0x2fb7, v85
	v_add_f16_e32 v3, v73, v3
	v_mul_lo_u32 v73, v75, 26
	v_or_b32_e32 v14, v74, v12
	v_add_f16_e32 v69, v69, v76
	v_add_f16_e32 v13, v71, v13
	v_add_f16_e32 v2, v2, v17
	s_delay_alu instid0(VALU_DEP_4)
	v_lshl_add_u32 v14, v14, 1, 0
	ds_store_b16 v14, v1
	ds_store_b16 v14, v50 offset:4
	ds_store_b16 v14, v51 offset:8
	;; [unrolled: 1-line block ×7, first 2 shown]
	v_mov_b32_e32 v1, 0
	v_or_b32_e32 v12, v73, v12
	s_delay_alu instid0(VALU_DEP_1)
	v_lshl_add_u32 v12, v12, 1, 0
	ds_store_b16 v14, v59 offset:32
	ds_store_b16 v14, v56 offset:36
	;; [unrolled: 1-line block ×5, first 2 shown]
	ds_store_b16 v12, v66
	ds_store_b16 v12, v15 offset:4
	ds_store_b16 v12, v67 offset:8
	;; [unrolled: 1-line block ×12, first 2 shown]
	v_subrev_nc_u32_e32 v45, 26, v28
	global_wb scope:SCOPE_SE
	s_wait_dscnt 0x0
	s_barrier_signal -1
	s_barrier_wait -1
	global_inv scope:SCOPE_SE
	s_wait_alu 0xf1ff
	v_cndmask_b32_e64 v52, v45, v28, s0
	ds_load_u16 v77, v48
	ds_load_u16 v75, v49
	;; [unrolled: 1-line block ×5, first 2 shown]
	ds_load_u16 v66, v37 offset:312
	ds_load_u16 v65, v37 offset:520
	ds_load_u16 v64, v37 offset:728
	ds_load_u16 v63, v37 offset:936
	ds_load_u16 v60, v37 offset:1144
	ds_load_u16 v73, v37 offset:1456
	ds_load_u16 v59, v37 offset:1352
	ds_load_u16 v68, v37 offset:2288
	ds_load_u16 v56, v37 offset:2184
	ds_load_u16 v70, v37 offset:2080
	ds_load_u16 v57, v37 offset:1976
	ds_load_u16 v72, v37 offset:1872
	ds_load_u16 v61, v37 offset:1768
	ds_load_u16 v76, v37 offset:1664
	ds_load_u16 v62, v37 offset:1560
	ds_load_u16 v78, v44
	ds_load_u16 v79, v43
	ds_load_u16 v50, v38
	ds_load_u16 v55, v37 offset:2600
	ds_load_u16 v69, v37 offset:2496
	;; [unrolled: 1-line block ×3, first 2 shown]
	global_wb scope:SCOPE_SE
	s_wait_dscnt 0x0
	s_barrier_signal -1
	s_barrier_wait -1
	global_inv scope:SCOPE_SE
	ds_store_b16 v14, v0
	ds_store_b16 v14, v5 offset:4
	ds_store_b16 v14, v7 offset:8
	ds_store_b16 v14, v8 offset:12
	ds_store_b16 v14, v10 offset:16
	ds_store_b16 v14, v16 offset:20
	ds_store_b16 v14, v20 offset:24
	ds_store_b16 v14, v23 offset:28
	v_mul_i32_i24_e32 v0, 12, v52
	ds_store_b16 v14, v19 offset:32
	ds_store_b16 v14, v11 offset:36
	;; [unrolled: 1-line block ×5, first 2 shown]
	ds_store_b16 v12, v53
	ds_store_b16 v12, v18 offset:4
	ds_store_b16 v12, v87 offset:8
	;; [unrolled: 1-line block ×12, first 2 shown]
	global_wb scope:SCOPE_SE
	s_wait_dscnt 0x0
	v_lshlrev_b64_e32 v[0:1], 2, v[0:1]
	s_barrier_signal -1
	s_barrier_wait -1
	global_inv scope:SCOPE_SE
	v_and_b32_e32 v10, 0xff, v29
	v_lshlrev_b32_e32 v52, 1, v52
	v_add_co_u32 v8, s1, s4, v0
	s_wait_alu 0xf1ff
	v_add_co_ci_u32_e64 v9, s1, s5, v1, s1
	s_clause 0x1
	global_load_b128 v[4:7], v[8:9], off offset:96
	global_load_b128 v[0:3], v[8:9], off offset:112
	v_mul_lo_u16 v10, 0x4f, v10
	global_load_b128 v[20:23], v[8:9], off offset:128
	v_cmp_lt_u32_e64 s1, 25, v28
	v_lshrrev_b16 v54, 11, v10
	s_delay_alu instid0(VALU_DEP_1) | instskip(SKIP_1) | instid1(VALU_DEP_2)
	v_mul_lo_u16 v8, v54, 26
	v_and_b32_e32 v54, 0xffff, v54
	v_sub_nc_u16 v8, v29, v8
	s_delay_alu instid0(VALU_DEP_2) | instskip(NEXT) | instid1(VALU_DEP_2)
	v_mul_u32_u24_e32 v54, 0x2a4, v54
	v_and_b32_e32 v53, 0xff, v8
	s_delay_alu instid0(VALU_DEP_1) | instskip(SKIP_1) | instid1(VALU_DEP_2)
	v_mul_u32_u24_e32 v8, 12, v53
	v_lshlrev_b32_e32 v53, 1, v53
	v_lshlrev_b32_e32 v16, 2, v8
	s_clause 0x2
	global_load_b128 v[8:11], v16, s[4:5] offset:96
	global_load_b128 v[12:15], v16, s[4:5] offset:112
	;; [unrolled: 1-line block ×3, first 2 shown]
	ds_load_u16 v83, v43
	ds_load_u16 v81, v44
	;; [unrolled: 1-line block ×6, first 2 shown]
	ds_load_u16 v46, v37 offset:2496
	ds_load_u16 v82, v37 offset:2600
	ds_load_u16 v67, v38
	ds_load_u16 v88, v37 offset:1456
	ds_load_u16 v89, v37 offset:1352
	s_wait_loadcnt 0x5
	v_lshrrev_b32_e32 v84, 16, v4
	v_lshrrev_b32_e32 v86, 16, v5
	;; [unrolled: 1-line block ×3, first 2 shown]
	s_wait_dscnt 0xa
	s_delay_alu instid0(VALU_DEP_3) | instskip(SKIP_3) | instid1(VALU_DEP_4)
	v_mul_f16_e32 v85, v83, v84
	v_mul_f16_e32 v98, v79, v84
	;; [unrolled: 1-line block ×3, first 2 shown]
	v_lshrrev_b32_e32 v84, 16, v7
	v_fma_f16 v99, v79, v4, -v85
	s_wait_dscnt 0x9
	v_mul_f16_e32 v79, v81, v86
	v_fmac_f16_e32 v98, v83, v4
	s_wait_dscnt 0x8
	v_mul_f16_e32 v4, v80, v87
	v_fmac_f16_e32 v93, v81, v5
	v_mul_f16_e32 v86, v77, v87
	v_fma_f16 v96, v78, v5, -v79
	ds_load_u16 v5, v37 offset:1664
	ds_load_u16 v85, v37 offset:1872
	s_wait_dscnt 0x9
	v_mul_f16_e32 v78, v49, v84
	v_fma_f16 v87, v77, v6, -v4
	v_mul_f16_e32 v81, v75, v84
	s_wait_loadcnt 0x4
	v_lshrrev_b32_e32 v4, 16, v0
	v_fmac_f16_e32 v86, v80, v6
	v_fma_f16 v80, v75, v7, -v78
	ds_load_u16 v6, v37 offset:2080
	v_fmac_f16_e32 v81, v49, v7
	s_wait_dscnt 0x9
	v_mul_f16_e32 v7, v48, v4
	v_lshrrev_b32_e32 v49, 16, v1
	v_mul_f16_e32 v77, v74, v4
	v_lshrrev_b32_e32 v4, 16, v2
	v_lshrrev_b32_e32 v79, 16, v3
	v_fma_f16 v78, v74, v0, -v7
	s_wait_dscnt 0x8
	v_mul_f16_e32 v7, v47, v49
	v_mul_f16_e32 v74, v71, v49
	v_fmac_f16_e32 v77, v48, v0
	s_wait_dscnt 0x4
	v_mul_f16_e32 v0, v88, v4
	v_fma_f16 v75, v71, v1, -v7
	ds_load_u16 v7, v37 offset:2288
	ds_load_u16 v48, v37 offset:2184
	v_fmac_f16_e32 v74, v47, v1
	s_wait_dscnt 0x4
	v_mul_f16_e32 v1, v5, v79
	v_mul_f16_e32 v71, v73, v4
	;; [unrolled: 1-line block ×3, first 2 shown]
	v_fma_f16 v73, v73, v2, -v0
	s_wait_loadcnt 0x3
	v_lshrrev_b32_e32 v0, 16, v20
	v_fma_f16 v76, v76, v3, -v1
	v_lshrrev_b32_e32 v1, 16, v21
	ds_load_u16 v47, v37 offset:1976
	ds_load_u16 v49, v37 offset:1768
	;; [unrolled: 1-line block ×3, first 2 shown]
	v_fmac_f16_e32 v71, v88, v2
	v_fmac_f16_e32 v79, v5, v3
	s_wait_dscnt 0x6
	v_mul_f16_e32 v2, v85, v0
	ds_load_u16 v3, v37 offset:312
	ds_load_u16 v4, v37 offset:520
	v_lshrrev_b32_e32 v5, 16, v22
	v_mul_f16_e32 v83, v72, v0
	s_wait_dscnt 0x7
	v_mul_f16_e32 v0, v6, v1
	v_mul_f16_e32 v90, v70, v1
	v_lshrrev_b32_e32 v1, 16, v23
	v_mul_f16_e32 v94, v68, v5
	v_fma_f16 v84, v72, v20, -v2
	v_fma_f16 v91, v70, v21, -v0
	s_wait_dscnt 0x6
	v_mul_f16_e32 v0, v7, v5
	ds_load_u16 v5, v37 offset:728
	v_fmac_f16_e32 v83, v85, v20
	ds_load_u16 v20, v37 offset:2392
	v_mul_f16_e32 v2, v46, v1
	v_fma_f16 v100, v68, v22, -v0
	ds_load_u16 v0, v37 offset:936
	v_mul_f16_e32 v95, v69, v1
	s_wait_loadcnt 0x2
	v_lshrrev_b32_e32 v1, 16, v8
	v_fma_f16 v101, v69, v23, -v2
	v_lshrrev_b32_e32 v2, 16, v9
	v_fmac_f16_e32 v90, v6, v21
	v_fmac_f16_e32 v94, v7, v22
	s_wait_dscnt 0x4
	v_mul_f16_e32 v7, v3, v1
	v_lshrrev_b32_e32 v21, 16, v10
	v_mul_f16_e32 v70, v66, v1
	s_wait_dscnt 0x3
	v_mul_f16_e32 v1, v4, v2
	ds_load_u16 v6, v37 offset:1144
	ds_load_u16 v97, v37
	v_fma_f16 v72, v66, v8, -v7
	v_lshrrev_b32_e32 v7, 16, v11
	v_mul_f16_e32 v68, v65, v2
	v_fma_f16 v69, v65, v9, -v1
	s_wait_dscnt 0x4
	v_mul_f16_e32 v1, v5, v21
	v_mul_f16_e32 v66, v64, v21
	;; [unrolled: 1-line block ×3, first 2 shown]
	v_fmac_f16_e32 v68, v4, v9
	s_wait_dscnt 0x2
	v_mul_f16_e32 v2, v0, v7
	v_fma_f16 v64, v64, v10, -v1
	s_wait_loadcnt 0x1
	v_lshrrev_b32_e32 v1, 16, v12
	v_lshrrev_b32_e32 v7, 16, v15
	v_fmac_f16_e32 v70, v3, v8
	v_fma_f16 v63, v63, v11, -v2
	v_lshrrev_b32_e32 v2, 16, v14
	v_mul_f16_e32 v4, v60, v1
	v_fmac_f16_e32 v65, v0, v11
	v_lshrrev_b32_e32 v0, 16, v13
	s_wait_dscnt 0x1
	v_mul_f16_e32 v3, v6, v1
	v_mul_f16_e32 v8, v49, v7
	v_fmac_f16_e32 v4, v6, v12
	v_mul_f16_e32 v6, v92, v2
	v_fmac_f16_e32 v66, v5, v10
	v_mul_f16_e32 v1, v89, v0
	v_fma_f16 v5, v60, v12, -v3
	v_mul_f16_e32 v3, v62, v2
	v_fma_f16 v2, v62, v14, -v6
	v_mul_f16_e32 v6, v61, v7
	s_wait_loadcnt 0x0
	v_lshrrev_b32_e32 v9, 16, v16
	v_fma_f16 v7, v61, v15, -v8
	v_lshrrev_b32_e32 v8, 16, v17
	v_mul_f16_e32 v0, v59, v0
	v_fma_f16 v1, v59, v13, -v1
	v_mul_f16_e32 v10, v47, v9
	v_lshrrev_b32_e32 v11, 16, v18
	v_mul_f16_e32 v59, v57, v9
	v_mul_f16_e32 v9, v48, v8
	v_fmac_f16_e32 v95, v46, v23
	v_lshrrev_b32_e32 v12, 16, v19
	v_mul_f16_e32 v60, v56, v8
	v_mul_f16_e32 v61, v58, v11
	v_fma_f16 v56, v56, v17, -v9
	v_mul_f16_e32 v9, v20, v11
	v_sub_f16_e32 v8, v98, v95
	v_fmac_f16_e32 v0, v89, v13
	v_fma_f16 v57, v57, v16, -v10
	v_add_f16_e32 v10, v99, v101
	v_fma_f16 v58, v58, v18, -v9
	v_mul_f16_e32 v9, v82, v12
	v_mul_f16_e32 v11, 0xb770, v8
	;; [unrolled: 1-line block ×3, first 2 shown]
	v_fmac_f16_e32 v61, v20, v18
	v_mul_f16_e32 v13, 0xba95, v8
	v_fma_f16 v55, v55, v19, -v9
	v_mul_f16_e32 v9, 0xbbf1, v8
	v_sub_f16_e32 v18, v93, v94
	v_fmac_f16_e32 v3, v92, v14
	v_fmac_f16_e32 v6, v49, v15
	;; [unrolled: 1-line block ×4, first 2 shown]
	v_fma_f16 v12, v10, 0x3b15, -v11
	v_fmac_f16_e32 v11, 0x3b15, v10
	v_fma_f16 v14, v10, 0x388b, -v13
	v_mul_f16_e32 v15, 0xbb7b, v8
	v_fma_f16 v16, v10, 0x2fb7, -v9
	v_mul_f16_e32 v17, 0xb94e, v8
	v_mul_f16_e32 v8, 0xb3a8, v8
	v_add_f16_e32 v20, v96, v100
	v_mul_f16_e32 v21, 0xba95, v18
	v_mul_f16_e32 v46, 0xbb7b, v18
	;; [unrolled: 1-line block ×3, first 2 shown]
	v_fmac_f16_e32 v62, v82, v19
	v_add_f16_e32 v12, v51, v12
	v_fmac_f16_e32 v13, 0x388b, v10
	v_fmac_f16_e32 v9, 0x2fb7, v10
	v_fma_f16 v19, v10, 0xb5ac, -v15
	v_fmac_f16_e32 v15, 0xb5ac, v10
	v_fma_f16 v22, v10, 0xb9fd, -v17
	;; [unrolled: 2-line block ×4, first 2 shown]
	v_add_f16_e32 v11, v51, v11
	v_fmac_f16_e32 v21, 0x388b, v20
	v_add_f16_e32 v14, v51, v14
	v_fma_f16 v48, v20, 0xb5ac, -v46
	v_add_f16_e32 v16, v51, v16
	v_fma_f16 v49, v20, 0xbbc4, -v47
	v_add_f16_e32 v13, v51, v13
	v_fmac_f16_e32 v46, 0xb5ac, v20
	v_add_f16_e32 v10, v10, v12
	v_add_f16_e32 v11, v21, v11
	;; [unrolled: 1-line block ×4, first 2 shown]
	v_mul_f16_e32 v16, 0x394e, v18
	v_mul_f16_e32 v21, 0x3bf1, v18
	v_add_f16_e32 v13, v46, v13
	v_add_f16_e32 v15, v51, v15
	v_add_f16_e32 v22, v51, v22
	v_fma_f16 v46, v20, 0xb9fd, -v16
	v_fmac_f16_e32 v16, 0xb9fd, v20
	v_fma_f16 v48, v20, 0x2fb7, -v21
	v_add_f16_e32 v9, v51, v9
	v_fmac_f16_e32 v47, 0xbbc4, v20
	v_add_f16_e32 v19, v51, v19
	v_add_f16_e32 v15, v16, v15
	;; [unrolled: 1-line block ×3, first 2 shown]
	v_sub_f16_e32 v22, v86, v90
	v_add_f16_e32 v9, v47, v9
	v_mul_f16_e32 v18, 0x3770, v18
	v_fmac_f16_e32 v21, 0x2fb7, v20
	v_add_f16_e32 v17, v51, v17
	v_add_f16_e32 v47, v87, v91
	v_mul_f16_e32 v48, 0xbbf1, v22
	v_add_f16_e32 v19, v46, v19
	v_fma_f16 v46, v20, 0x3b15, -v18
	v_fmac_f16_e32 v18, 0x3b15, v20
	v_add_f16_e32 v20, v51, v23
	v_add_f16_e32 v8, v51, v8
	v_add_f16_e32 v17, v21, v17
	v_fma_f16 v21, v47, 0x2fb7, -v48
	v_mul_f16_e32 v23, 0xb3a8, v22
	v_add_f16_e32 v20, v46, v20
	v_add_f16_e32 v8, v18, v8
	v_mul_f16_e32 v46, 0x3770, v22
	v_add_f16_e32 v10, v21, v10
	v_fma_f16 v18, v47, 0xbbc4, -v23
	v_mul_f16_e32 v21, 0x3b7b, v22
	v_fmac_f16_e32 v23, 0xbbc4, v47
	v_fmac_f16_e32 v48, 0x2fb7, v47
	v_add_f16_e32 v82, v69, v58
	v_add_f16_e32 v12, v18, v12
	v_fma_f16 v18, v47, 0xb5ac, -v21
	v_fmac_f16_e32 v21, 0xb5ac, v47
	v_add_f16_e32 v13, v23, v13
	v_fma_f16 v23, v47, 0x3b15, -v46
	v_fmac_f16_e32 v46, 0x3b15, v47
	v_add_f16_e32 v14, v18, v14
	v_mul_f16_e32 v18, 0xba95, v22
	v_add_f16_e32 v9, v21, v9
	v_sub_f16_e32 v21, v81, v83
	v_add_f16_e32 v11, v48, v11
	v_add_f16_e32 v19, v23, v19
	v_add_f16_e32 v15, v46, v15
	v_fma_f16 v23, v47, 0x388b, -v18
	v_mul_f16_e32 v22, 0xb94e, v22
	v_fmac_f16_e32 v18, 0x388b, v47
	v_add_f16_e32 v46, v80, v84
	v_mul_f16_e32 v48, 0xbb7b, v21
	v_add_f16_e32 v16, v23, v16
	v_fma_f16 v23, v47, 0xb9fd, -v22
	v_fmac_f16_e32 v22, 0xb9fd, v47
	v_add_f16_e32 v17, v18, v17
	v_fma_f16 v18, v46, 0xb5ac, -v48
	v_mul_f16_e32 v47, 0x394e, v21
	v_add_f16_e32 v20, v23, v20
	v_add_f16_e32 v8, v22, v8
	v_mul_f16_e32 v22, 0x3770, v21
	v_add_f16_e32 v10, v18, v10
	v_fma_f16 v18, v46, 0xb9fd, -v47
	v_fmac_f16_e32 v47, 0xb9fd, v46
	v_mul_f16_e32 v23, 0xbbf1, v21
	v_fmac_f16_e32 v48, 0xb5ac, v46
	v_add_f16_e32 v105, v64, v56
	v_add_f16_e32 v12, v18, v12
	v_fma_f16 v18, v46, 0x3b15, -v22
	v_fmac_f16_e32 v22, 0x3b15, v46
	v_add_f16_e32 v13, v47, v13
	v_fma_f16 v47, v46, 0x2fb7, -v23
	v_fmac_f16_e32 v23, 0x2fb7, v46
	v_add_f16_e32 v14, v18, v14
	v_mul_f16_e32 v18, 0x33a8, v21
	v_add_f16_e32 v9, v22, v9
	v_sub_f16_e32 v22, v77, v79
	v_add_f16_e32 v11, v48, v11
	v_add_f16_e32 v19, v47, v19
	v_add_f16_e32 v15, v23, v15
	v_fma_f16 v23, v46, 0xbbc4, -v18
	v_mul_f16_e32 v21, 0x3a95, v21
	v_fmac_f16_e32 v18, 0xbbc4, v46
	v_add_f16_e32 v47, v78, v76
	v_mul_f16_e32 v48, 0xb94e, v22
	v_add_f16_e32 v16, v23, v16
	v_fma_f16 v23, v46, 0x388b, -v21
	v_fmac_f16_e32 v21, 0x388b, v46
	v_add_f16_e32 v17, v18, v17
	v_fma_f16 v18, v47, 0xb9fd, -v48
	v_mul_f16_e32 v46, 0x3bf1, v22
	v_add_f16_e32 v20, v23, v20
	v_add_f16_e32 v8, v21, v8
	v_mul_f16_e32 v21, 0xba95, v22
	v_add_f16_e32 v10, v18, v10
	v_fma_f16 v18, v47, 0x2fb7, -v46
	v_fmac_f16_e32 v46, 0x2fb7, v47
	v_mul_f16_e32 v23, 0x33a8, v22
	;; [unrolled: 33-line block ×3, first 2 shown]
	v_fmac_f16_e32 v48, 0xbbc4, v46
	v_add_f16_e32 v51, v51, v96
	v_add_f16_e32 v12, v18, v12
	v_fma_f16 v18, v46, 0xb9fd, -v22
	v_add_f16_e32 v13, v47, v13
	v_fmac_f16_e32 v22, 0xb9fd, v46
	v_fma_f16 v47, v46, 0x388b, -v23
	v_fmac_f16_e32 v23, 0x388b, v46
	v_add_f16_e32 v14, v18, v14
	v_mul_f16_e32 v18, 0xbb7b, v21
	v_add_f16_e32 v9, v22, v9
	v_sub_f16_e32 v22, v70, v62
	v_add_f16_e32 v15, v23, v15
	v_add_f16_e32 v11, v48, v11
	v_fma_f16 v23, v46, 0xb5ac, -v18
	v_add_f16_e32 v19, v47, v19
	v_fmac_f16_e32 v18, 0xb5ac, v46
	v_mul_f16_e32 v21, 0x3bf1, v21
	v_add_f16_e32 v47, v72, v55
	v_mul_f16_e32 v48, 0xbbf1, v22
	v_add_f16_e32 v16, v23, v16
	v_sub_f16_e32 v23, v68, v61
	v_add_f16_e32 v17, v18, v17
	v_fma_f16 v18, v46, 0x2fb7, -v21
	v_fma_f16 v49, v47, 0x2fb7, -v48
	v_fmac_f16_e32 v21, 0x2fb7, v46
	v_mul_f16_e32 v85, 0xb3a8, v23
	v_fmac_f16_e32 v48, 0x2fb7, v47
	v_add_f16_e32 v18, v18, v20
	v_add_f16_e32 v20, v50, v49
	v_mul_f16_e32 v49, 0xbb7b, v22
	v_fma_f16 v46, v82, 0xbbc4, -v85
	v_add_f16_e32 v48, v50, v48
	v_fmac_f16_e32 v85, 0xbbc4, v82
	v_add_f16_e32 v21, v21, v8
	v_mul_f16_e32 v89, 0x3bf1, v23
	v_add_f16_e32 v8, v46, v20
	v_mul_f16_e32 v46, 0xb94e, v22
	v_fma_f16 v20, v47, 0xb5ac, -v49
	v_add_f16_e32 v48, v85, v48
	v_mul_f16_e32 v85, 0x394e, v23
	v_fmac_f16_e32 v49, 0xb5ac, v47
	v_fma_f16 v88, v47, 0xb9fd, -v46
	v_add_f16_e32 v20, v50, v20
	v_fma_f16 v102, v82, 0x2fb7, -v89
	v_fma_f16 v92, v82, 0xb9fd, -v85
	v_add_f16_e32 v49, v50, v49
	v_fmac_f16_e32 v85, 0xb9fd, v82
	v_add_f16_e32 v88, v50, v88
	v_fmac_f16_e32 v46, 0xb9fd, v47
	v_mul_f16_e32 v103, 0xb3a8, v22
	v_add_f16_e32 v20, v92, v20
	v_add_f16_e32 v49, v85, v49
	;; [unrolled: 1-line block ×4, first 2 shown]
	v_fma_f16 v88, v47, 0xbbc4, -v103
	v_mul_f16_e32 v92, 0x3770, v23
	v_fmac_f16_e32 v103, 0xbbc4, v47
	v_fmac_f16_e32 v89, 0x2fb7, v82
	v_sub_f16_e32 v102, v66, v60
	v_add_f16_e32 v88, v50, v88
	v_fma_f16 v104, v82, 0x3b15, -v92
	v_add_f16_e32 v103, v50, v103
	v_fmac_f16_e32 v92, 0x3b15, v82
	v_mul_f16_e32 v106, 0x3b7b, v102
	v_add_f16_e32 v46, v89, v46
	v_mul_f16_e32 v89, 0x3770, v102
	v_add_f16_e32 v88, v104, v88
	v_add_f16_e32 v92, v92, v103
	v_fma_f16 v104, v105, 0xb5ac, -v106
	v_mul_f16_e32 v103, 0xba95, v102
	v_fmac_f16_e32 v106, 0xb5ac, v105
	v_fma_f16 v107, v105, 0x3b15, -v89
	v_fmac_f16_e32 v89, 0x3b15, v105
	v_add_f16_e32 v8, v104, v8
	v_fma_f16 v104, v105, 0x388b, -v103
	v_add_f16_e32 v48, v106, v48
	v_mul_f16_e32 v106, 0xb94e, v102
	v_add_f16_e32 v49, v89, v49
	v_sub_f16_e32 v89, v65, v59
	v_fmac_f16_e32 v103, 0x388b, v105
	v_add_f16_e32 v20, v107, v20
	v_add_f16_e32 v85, v104, v85
	v_fma_f16 v104, v105, 0xb9fd, -v106
	v_fmac_f16_e32 v106, 0xb9fd, v105
	v_add_f16_e32 v107, v63, v57
	v_mul_f16_e32 v108, 0x3770, v89
	v_add_f16_e32 v46, v103, v46
	v_mul_f16_e32 v103, 0xbbf1, v89
	v_add_f16_e32 v88, v104, v88
	v_add_f16_e32 v92, v106, v92
	v_fma_f16 v104, v107, 0x3b15, -v108
	v_mul_f16_e32 v109, 0x33a8, v89
	v_fma_f16 v106, v107, 0x2fb7, -v103
	v_fmac_f16_e32 v103, 0x2fb7, v107
	v_fmac_f16_e32 v108, 0x3b15, v107
	v_add_f16_e32 v8, v104, v8
	v_fma_f16 v104, v107, 0xbbc4, -v109
	v_add_f16_e32 v20, v106, v20
	v_add_f16_e32 v49, v103, v49
	v_sub_f16_e32 v103, v4, v6
	v_add_f16_e32 v48, v108, v48
	v_fmac_f16_e32 v109, 0xbbc4, v107
	v_mul_f16_e32 v106, 0x3a95, v89
	v_add_f16_e32 v85, v104, v85
	v_add_f16_e32 v104, v5, v7
	v_mul_f16_e32 v108, 0xba95, v103
	v_add_f16_e32 v46, v109, v46
	v_fma_f16 v109, v107, 0x388b, -v106
	v_fmac_f16_e32 v106, 0x388b, v107
	v_mul_f16_e32 v110, 0x33a8, v103
	v_fma_f16 v111, v104, 0x388b, -v108
	v_fmac_f16_e32 v108, 0x388b, v104
	v_add_f16_e32 v88, v109, v88
	v_add_f16_e32 v92, v106, v92
	v_fma_f16 v106, v104, 0xbbc4, -v110
	v_add_f16_e32 v109, v111, v8
	v_mul_f16_e32 v8, 0x3770, v103
	v_pk_mul_f16 v22, 0xb770ba95, v22 op_sel_hi:[1,0]
	v_add_f16_e32 v48, v108, v48
	v_fmac_f16_e32 v110, 0xbbc4, v104
	v_add_f16_e32 v20, v106, v20
	v_mul_f16_e32 v106, 0xbb7b, v103
	v_fma_f16 v108, v104, 0x3b15, -v8
	v_fmac_f16_e32 v8, 0x3b15, v104
	v_pk_fma_f16 v111, 0x3b15388b, v47, v22 op_sel_hi:[1,0,1] neg_lo:[0,0,1] neg_hi:[0,0,1]
	v_pk_mul_f16 v23, 0xba95bb7b, v23 op_sel_hi:[1,0]
	v_add_f16_e32 v49, v110, v49
	v_fma_f16 v110, v104, 0xb5ac, -v106
	v_add_f16_e32 v85, v108, v85
	v_add_f16_e32 v46, v8, v46
	v_lshrrev_b32_e32 v8, 16, v111
	v_pk_fma_f16 v108, 0x388bb5ac, v82, v23 op_sel_hi:[1,0,1] neg_lo:[0,0,1] neg_hi:[0,0,1]
	v_pk_mul_f16 v102, 0xbbf1b3a8, v102 op_sel_hi:[1,0]
	v_add_f16_e32 v88, v110, v88
	v_pk_fma_f16 v22, 0x3b15388b, v47, v22 op_sel_hi:[1,0,1]
	v_add_f16_e32 v8, v50, v8
	v_lshrrev_b32_e32 v47, 16, v108
	v_pk_fma_f16 v110, 0x2fb7bbc4, v105, v102 op_sel_hi:[1,0,1] neg_lo:[0,0,1] neg_hi:[0,0,1]
	v_add_f16_e32 v111, v50, v111
	v_pk_fma_f16 v23, 0x388bb5ac, v82, v23 op_sel_hi:[1,0,1]
	v_pk_add_f16 v22, v50, v22 op_sel_hi:[0,1]
	v_add_f16_e32 v8, v47, v8
	v_lshrrev_b32_e32 v47, 16, v110
	v_pk_mul_f16 v82, 0xbb7b394e, v89 op_sel_hi:[1,0]
	v_add_f16_e32 v89, v108, v111
	v_pk_add_f16 v22, v23, v22
	v_pk_fma_f16 v23, 0x2fb7bbc4, v105, v102 op_sel_hi:[1,0,1]
	v_add_f16_e32 v8, v47, v8
	v_pk_fma_f16 v47, 0xb5acb9fd, v107, v82 op_sel_hi:[1,0,1] neg_lo:[0,0,1] neg_hi:[0,0,1]
	v_pk_mul_f16 v102, 0xb94e3bf1, v103 op_sel_hi:[1,0]
	v_sub_f16_e32 v103, v0, v3
	v_add_f16_e32 v89, v110, v89
	v_pk_add_f16 v22, v23, v22
	v_lshrrev_b32_e32 v23, 16, v47
	v_pk_fma_f16 v105, 0xb9fd2fb7, v104, v102 op_sel_hi:[1,0,1] neg_lo:[0,0,1] neg_hi:[0,0,1]
	v_add_f16_e32 v108, v1, v2
	v_pk_mul_f16 v110, 0xb3a83770, v103 op_sel_hi:[1,0]
	v_add_f16_e32 v50, v50, v72
	v_add_f16_e32 v8, v23, v8
	;; [unrolled: 1-line block ×3, first 2 shown]
	v_lshrrev_b32_e32 v47, 16, v105
	v_pk_fma_f16 v89, 0xbbc43b15, v108, v110 op_sel_hi:[1,0,1] neg_lo:[0,0,1] neg_hi:[0,0,1]
	v_add_f16_e32 v50, v50, v69
	v_pk_fma_f16 v82, 0xb5acb9fd, v107, v82 op_sel_hi:[1,0,1]
	v_add_f16_e32 v23, v105, v23
	v_add_f16_e32 v8, v47, v8
	v_lshrrev_b32_e32 v47, 16, v89
	v_add_f16_e32 v50, v50, v64
	v_pk_add_f16 v22, v82, v22
	v_add_f16_e32 v23, v89, v23
	v_pk_fma_f16 v82, 0xb9fd2fb7, v104, v102 op_sel_hi:[1,0,1]
	v_add_f16_e32 v47, v47, v8
	v_add_f16_e32 v8, v51, v87
	;; [unrolled: 1-line block ×3, first 2 shown]
	v_pk_fma_f16 v51, 0xbbc43b15, v108, v110 op_sel_hi:[1,0,1]
	v_pk_add_f16 v22, v82, v22
	v_mul_f16_e32 v82, 0xb94e, v103
	v_add_f16_e32 v89, v8, v80
	v_add_f16_e32 v50, v50, v5
	v_fmac_f16_e32 v106, 0xb5ac, v104
	v_pk_add_f16 v8, v51, v22
	v_mul_f16_e32 v22, 0x3a95, v103
	v_add_f16_e32 v89, v89, v78
	v_fma_f16 v51, v108, 0xb9fd, -v82
	v_fmac_f16_e32 v82, 0xb9fd, v108
	v_add_f16_e32 v50, v50, v1
	v_fma_f16 v102, v108, 0x388b, -v22
	v_add_f16_e32 v89, v89, v75
	v_fmac_f16_e32 v22, 0x388b, v108
	v_add_f16_e32 v48, v82, v48
	v_mul_f16_e32 v82, 0xbb7b, v103
	v_add_f16_e32 v50, v50, v2
	v_add_f16_e32 v89, v89, v73
	;; [unrolled: 1-line block ×3, first 2 shown]
	v_mul_f16_e32 v102, 0x3bf1, v103
	v_fma_f16 v103, v108, 0xb5ac, -v82
	v_fmac_f16_e32 v82, 0xb5ac, v108
	v_add_f16_e32 v89, v89, v76
	v_add_f16_e32 v50, v50, v7
	;; [unrolled: 1-line block ×7, first 2 shown]
	s_wait_alu 0xf1ff
	v_cndmask_b32_e64 v85, 0, 0x2a4, s1
	v_fma_f16 v104, v108, 0x2fb7, -v102
	v_add_f16_e32 v92, v106, v92
	v_add_f16_e32 v82, v89, v91
	;; [unrolled: 1-line block ×3, first 2 shown]
	v_fmac_f16_e32 v102, 0x2fb7, v108
	v_add_f16_e32 v51, v51, v109
	v_add_f16_e32 v88, v104, v88
	;; [unrolled: 1-line block ×3, first 2 shown]
	v_add3_u32 v82, 0, v85, v52
	v_add_f16_e32 v50, v50, v58
	v_add_f16_e32 v92, v102, v92
	global_wb scope:SCOPE_SE
	s_wait_dscnt 0x0
	v_add_f16_e32 v52, v89, v101
	s_barrier_signal -1
	s_barrier_wait -1
	global_inv scope:SCOPE_SE
	ds_store_b16 v82, v52
	ds_store_b16 v82, v10 offset:52
	ds_store_b16 v82, v12 offset:104
	;; [unrolled: 1-line block ×7, first 2 shown]
	v_add3_u32 v85, 0, v54, v53
	v_add_f16_e32 v10, v50, v55
	ds_store_b16 v82, v17 offset:416
	ds_store_b16 v82, v15 offset:468
	;; [unrolled: 1-line block ×5, first 2 shown]
	ds_store_b16 v85, v10
	ds_store_b16 v85, v47 offset:52
	ds_store_b16 v85, v23 offset:104
	;; [unrolled: 1-line block ×11, first 2 shown]
	ds_store_b16_d16_hi v85, v8 offset:624
	global_wb scope:SCOPE_SE
	s_wait_dscnt 0x0
	s_barrier_signal -1
	v_lshl_add_u32 v88, v31, 1, 0
	s_barrier_wait -1
	global_inv scope:SCOPE_SE
	ds_load_u16 v19, v37 offset:2236
	ds_load_u16 v11, v37
	ds_load_u16 v12, v37 offset:676
	ds_load_u16 v14, v37 offset:780
	;; [unrolled: 1-line block ×5, first 2 shown]
	v_lshl_add_u32 v89, v33, 1, 0
	ds_load_u16 v16, v37 offset:1456
	ds_load_u16 v23, v37 offset:1560
	;; [unrolled: 1-line block ×6, first 2 shown]
	ds_load_u16 v44, v44
	ds_load_u16 v15, v43
	;; [unrolled: 1-line block ×3, first 2 shown]
	ds_load_u16 v18, v37 offset:1352
	ds_load_u16 v52, v37 offset:1196
	;; [unrolled: 1-line block ×5, first 2 shown]
	ds_load_u16 v22, v88
	ds_load_u16 v13, v38
	ds_load_u16 v53, v37 offset:2548
	v_sub_nc_u32_e32 v9, 0, v42
	v_sub_nc_u32_e32 v42, 0, v39
	;; [unrolled: 1-line block ×3, first 2 shown]
                                        ; implicit-def: $vgpr10
	s_delay_alu instid0(VALU_DEP_3)
	v_add_nc_u32_e32 v41, v41, v9
                                        ; implicit-def: $vgpr9
	s_and_saveexec_b32 s1, s0
	s_cbranch_execz .LBB0_15
; %bb.14:
	ds_load_u16 v8, v41
	s_wait_dscnt 0x0
	ds_load_u16_d16_hi v8, v37 offset:1300
	ds_load_u16 v9, v37 offset:1976
	ds_load_u16 v10, v37 offset:2652
.LBB0_15:
	s_wait_alu 0xfffe
	s_or_b32 exec_lo, exec_lo, s1
	v_add_f16_e32 v39, v97, v98
	v_sub_f16_e32 v40, v99, v101
	v_add_f16_e32 v98, v98, v95
	v_add_f16_e32 v99, v93, v94
	v_sub_f16_e32 v96, v96, v100
	v_add_f16_e32 v39, v39, v93
	v_mul_f16_e32 v93, 0xb770, v40
	v_mul_f16_e32 v100, 0xba95, v40
	;; [unrolled: 1-line block ×4, first 2 shown]
	v_add_f16_e32 v39, v39, v86
	v_mul_f16_e32 v103, 0xb94e, v40
	v_mul_f16_e32 v40, 0xb3a8, v40
	;; [unrolled: 1-line block ×4, first 2 shown]
	v_add_f16_e32 v39, v39, v81
	v_fmamk_f16 v107, v98, 0x3b15, v93
	v_fma_f16 v93, v98, 0x3b15, -v93
	v_fmamk_f16 v108, v98, 0x388b, v100
	v_fma_f16 v100, v98, 0x388b, -v100
	v_add_f16_e32 v39, v39, v77
	v_fmamk_f16 v112, v98, 0xbbc4, v40
	v_fma_f16 v40, v98, 0xbbc4, -v40
	v_mul_f16_e32 v106, 0xb3a8, v96
	v_fmamk_f16 v109, v98, 0x2fb7, v101
	v_add_f16_e32 v39, v39, v74
	v_fma_f16 v101, v98, 0x2fb7, -v101
	v_fmamk_f16 v110, v98, 0xb5ac, v102
	v_fma_f16 v102, v98, 0xb5ac, -v102
	v_fmamk_f16 v111, v98, 0xb9fd, v103
	v_add_f16_e32 v39, v39, v71
	v_fma_f16 v103, v98, 0xb9fd, -v103
	v_fmamk_f16 v98, v99, 0x388b, v104
	v_fma_f16 v104, v99, 0x388b, -v104
	v_fmamk_f16 v113, v99, 0xb5ac, v105
	v_add_f16_e32 v39, v39, v79
	v_fma_f16 v105, v99, 0xb5ac, -v105
	v_add_f16_e32 v93, v97, v93
	v_add_f16_e32 v100, v97, v100
	;; [unrolled: 1-line block ×6, first 2 shown]
	v_fma_f16 v104, v99, 0xbbc4, -v106
	v_add_f16_e32 v111, v97, v111
	v_add_f16_e32 v39, v39, v90
	;; [unrolled: 1-line block ×3, first 2 shown]
	v_sub_f16_e32 v87, v87, v91
	v_add_f16_e32 v101, v104, v101
	v_mul_f16_e32 v91, 0x3770, v96
	v_add_f16_e32 v39, v39, v94
	v_add_f16_e32 v94, v97, v40
	;; [unrolled: 1-line block ×6, first 2 shown]
	v_mul_f16_e32 v39, 0x394e, v96
	v_add_f16_e32 v95, v105, v100
	v_fmamk_f16 v100, v99, 0xbbc4, v106
	v_mul_f16_e32 v105, 0x3bf1, v96
	v_mul_f16_e32 v90, 0xbbf1, v87
	v_fmamk_f16 v106, v99, 0xb9fd, v39
	v_fma_f16 v39, v99, 0xb9fd, -v39
	v_add_f16_e32 v109, v97, v109
	v_fmamk_f16 v104, v99, 0x2fb7, v105
	v_add_f16_e32 v110, v97, v110
	v_add_f16_e32 v112, v97, v112
	;; [unrolled: 1-line block ×3, first 2 shown]
	v_fma_f16 v102, v99, 0x2fb7, -v105
	v_add_f16_e32 v96, v104, v111
	v_fmamk_f16 v104, v99, 0x3b15, v91
	v_fma_f16 v91, v99, 0x3b15, -v91
	v_add_f16_e32 v97, v98, v107
	v_add_f16_e32 v99, v102, v103
	v_mul_f16_e32 v102, 0xb3a8, v87
	v_add_f16_e32 v98, v113, v108
	v_fmamk_f16 v103, v86, 0x2fb7, v90
	v_add_f16_e32 v91, v91, v94
	v_fma_f16 v90, v86, 0x2fb7, -v90
	v_fmamk_f16 v94, v86, 0xbbc4, v102
	v_fma_f16 v102, v86, 0xbbc4, -v102
	v_add_f16_e32 v97, v103, v97
	v_mul_f16_e32 v103, 0x3b7b, v87
	v_add_f16_e32 v90, v90, v93
	v_add_f16_e32 v93, v94, v98
	v_mul_f16_e32 v94, 0x3770, v87
	v_add_f16_e32 v100, v100, v109
	v_add_f16_e32 v95, v102, v95
	v_fmamk_f16 v98, v86, 0xb5ac, v103
	v_fma_f16 v102, v86, 0xb5ac, -v103
	v_mul_f16_e32 v103, 0xba95, v87
	v_fmamk_f16 v105, v86, 0x3b15, v94
	v_fma_f16 v94, v86, 0x3b15, -v94
	v_sub_f16_e32 v80, v80, v84
	v_add_f16_e32 v98, v98, v100
	v_add_f16_e32 v100, v102, v101
	v_fmamk_f16 v101, v86, 0x388b, v103
	v_add_f16_e32 v39, v94, v39
	v_mul_f16_e32 v84, 0xb94e, v87
	v_fma_f16 v94, v86, 0x388b, -v103
	v_add_f16_e32 v81, v81, v83
	v_mul_f16_e32 v83, 0xbb7b, v80
	v_add_f16_e32 v87, v101, v96
	v_fmamk_f16 v96, v86, 0xb9fd, v84
	v_fma_f16 v84, v86, 0xb9fd, -v84
	v_add_f16_e32 v86, v94, v99
	v_mul_f16_e32 v94, 0x394e, v80
	v_fmamk_f16 v99, v81, 0xb5ac, v83
	v_fma_f16 v83, v81, 0xb5ac, -v83
	v_add_f16_e32 v84, v84, v91
	v_sub_f16_e32 v76, v78, v76
	v_fmamk_f16 v91, v81, 0xb9fd, v94
	v_add_f16_e32 v97, v99, v97
	v_fma_f16 v94, v81, 0xb9fd, -v94
	v_mul_f16_e32 v99, 0x3770, v80
	v_add_f16_e32 v83, v83, v90
	v_add_f16_e32 v90, v91, v93
	v_mul_f16_e32 v91, 0xbbf1, v80
	v_add_f16_e32 v93, v94, v95
	v_fmamk_f16 v94, v81, 0x3b15, v99
	v_fma_f16 v95, v81, 0x3b15, -v99
	v_mul_f16_e32 v99, 0x33a8, v80
	v_fmamk_f16 v101, v81, 0x2fb7, v91
	v_fma_f16 v91, v81, 0x2fb7, -v91
	v_add_f16_e32 v94, v94, v98
	v_mul_f16_e32 v78, 0x3a95, v80
	v_fmamk_f16 v98, v81, 0xbbc4, v99
	v_add_f16_e32 v77, v77, v79
	v_add_f16_e32 v39, v91, v39
	v_mul_f16_e32 v79, 0xb94e, v76
	v_fmamk_f16 v91, v81, 0x388b, v78
	v_add_f16_e32 v80, v98, v87
	v_fma_f16 v87, v81, 0xbbc4, -v99
	v_fma_f16 v78, v81, 0x388b, -v78
	v_add_f16_e32 v104, v104, v112
	v_sub_f16_e32 v73, v75, v73
	v_add_f16_e32 v71, v74, v71
	v_add_f16_e32 v81, v87, v86
	v_mul_f16_e32 v86, 0x3bf1, v76
	v_fmamk_f16 v87, v77, 0xb9fd, v79
	v_add_f16_e32 v78, v78, v84
	v_fma_f16 v79, v77, 0xb9fd, -v79
	v_add_f16_e32 v96, v96, v104
	v_fmamk_f16 v84, v77, 0x2fb7, v86
	v_add_f16_e32 v87, v87, v97
	v_fma_f16 v86, v77, 0x2fb7, -v86
	v_add_f16_e32 v79, v79, v83
	v_add_f16_e32 v91, v91, v96
	;; [unrolled: 1-line block ×3, first 2 shown]
	v_mul_f16_e32 v84, 0x33a8, v76
	v_mul_f16_e32 v96, 0xba95, v76
	v_add_f16_e32 v86, v86, v93
	v_mul_f16_e32 v74, 0xb3a8, v73
	v_add_f16_e32 v106, v106, v110
	v_fmamk_f16 v97, v77, 0xbbc4, v84
	v_fma_f16 v84, v77, 0xbbc4, -v84
	v_fmamk_f16 v90, v77, 0x388b, v96
	v_fma_f16 v93, v77, 0x388b, -v96
	v_mul_f16_e32 v96, 0x3770, v76
	v_mul_f16_e32 v76, 0xbb7b, v76
	v_add_f16_e32 v39, v84, v39
	v_add_f16_e32 v84, v67, v70
	;; [unrolled: 1-line block ×3, first 2 shown]
	v_fmamk_f16 v94, v77, 0x3b15, v96
	v_fma_f16 v75, v77, 0x3b15, -v96
	v_add_f16_e32 v95, v95, v100
	v_add_f16_e32 v84, v84, v68
	;; [unrolled: 1-line block ×4, first 2 shown]
	v_fmamk_f16 v94, v77, 0xb5ac, v76
	v_fma_f16 v76, v77, 0xb5ac, -v76
	v_add_f16_e32 v77, v84, v66
	v_add_f16_e32 v75, v75, v81
	v_fmamk_f16 v84, v71, 0xbbc4, v74
	v_add_f16_e32 v81, v94, v91
	v_mul_f16_e32 v91, 0x3770, v73
	v_add_f16_e32 v77, v77, v65
	v_fma_f16 v74, v71, 0xbbc4, -v74
	v_add_f16_e32 v76, v76, v78
	v_add_f16_e32 v78, v84, v87
	v_fmamk_f16 v84, v71, 0x3b15, v91
	v_add_f16_e32 v77, v77, v4
	v_mul_f16_e32 v87, 0xb94e, v73
	v_add_f16_e32 v74, v74, v79
	v_fma_f16 v79, v71, 0x3b15, -v91
	v_mul_f16_e32 v91, 0x3a95, v73
	v_add_f16_e32 v77, v77, v0
	v_add_f16_e32 v83, v84, v83
	v_fmamk_f16 v84, v71, 0xb9fd, v87
	v_add_f16_e32 v79, v79, v86
	v_fma_f16 v86, v71, 0xb9fd, -v87
	v_add_f16_e32 v77, v77, v3
	v_fmamk_f16 v87, v71, 0x388b, v91
	v_fma_f16 v91, v71, 0x388b, -v91
	v_add_f16_e32 v93, v93, v95
	v_add_f16_e32 v84, v84, v90
	;; [unrolled: 1-line block ×3, first 2 shown]
	v_mul_f16_e32 v90, 0xbb7b, v73
	v_add_f16_e32 v91, v91, v39
	v_mul_f16_e32 v73, 0x3bf1, v73
	v_sub_f16_e32 v55, v72, v55
	v_add_f16_e32 v39, v77, v59
	v_add_f16_e32 v100, v101, v102
	;; [unrolled: 1-line block ×3, first 2 shown]
	v_fmamk_f16 v93, v71, 0xb5ac, v90
	v_fma_f16 v90, v71, 0xb5ac, -v90
	v_add_f16_e32 v39, v39, v60
	v_fmamk_f16 v72, v71, 0x2fb7, v73
	v_fma_f16 v71, v71, 0x2fb7, -v73
	v_add_f16_e32 v70, v70, v62
	v_mul_f16_e32 v73, 0xbbf1, v55
	v_add_f16_e32 v39, v39, v61
	v_sub_f16_e32 v58, v69, v58
	v_add_f16_e32 v95, v97, v100
	v_add_f16_e32 v77, v93, v80
	v_fmamk_f16 v80, v70, 0x2fb7, v73
	v_add_f16_e32 v62, v39, v62
	v_fma_f16 v39, v70, 0x2fb7, -v73
	v_mul_f16_e32 v73, 0xb94e, v55
	v_add_f16_e32 v61, v68, v61
	v_mul_f16_e32 v68, 0xb3a8, v58
	v_add_f16_e32 v87, v87, v95
	v_add_f16_e32 v75, v90, v75
	;; [unrolled: 1-line block ×3, first 2 shown]
	v_mul_f16_e32 v76, 0xbb7b, v55
	v_add_f16_e32 v39, v67, v39
	v_fmamk_f16 v90, v70, 0xb9fd, v73
	v_fmamk_f16 v95, v61, 0xbbc4, v68
	v_fma_f16 v68, v61, 0xbbc4, -v68
	v_mul_f16_e32 v96, 0x3bf1, v58
	v_add_f16_e32 v72, v72, v81
	v_fmamk_f16 v81, v70, 0xb5ac, v76
	v_add_f16_e32 v80, v67, v80
	v_fma_f16 v76, v70, 0xb5ac, -v76
	v_mul_f16_e32 v93, 0xb3a8, v55
	v_add_f16_e32 v69, v67, v90
	v_fma_f16 v73, v70, 0xb9fd, -v73
	v_mul_f16_e32 v94, 0x394e, v58
	v_add_f16_e32 v39, v68, v39
	v_fmamk_f16 v68, v61, 0x2fb7, v96
	v_add_f16_e32 v76, v67, v76
	v_fmamk_f16 v90, v70, 0xbbc4, v93
	v_fma_f16 v93, v70, 0xbbc4, -v93
	v_add_f16_e32 v73, v67, v73
	v_fmamk_f16 v97, v61, 0xb9fd, v94
	v_add_f16_e32 v80, v95, v80
	v_fma_f16 v94, v61, 0xb9fd, -v94
	v_mul_f16_e32 v95, 0x3770, v58
	v_sub_f16_e32 v56, v64, v56
	v_add_f16_e32 v64, v68, v69
	v_fma_f16 v68, v61, 0x2fb7, -v96
	v_add_f16_e32 v81, v67, v81
	v_add_f16_e32 v90, v67, v90
	;; [unrolled: 1-line block ×4, first 2 shown]
	v_fmamk_f16 v69, v61, 0x3b15, v95
	v_add_f16_e32 v60, v66, v60
	v_mul_f16_e32 v66, 0x3b7b, v56
	v_fma_f16 v94, v61, 0x3b15, -v95
	v_add_f16_e32 v68, v68, v73
	v_mul_f16_e32 v73, 0x3770, v56
	v_add_f16_e32 v81, v97, v81
	v_add_f16_e32 v69, v69, v90
	v_fmamk_f16 v90, v60, 0xb5ac, v66
	v_add_f16_e32 v93, v94, v93
	v_mul_f16_e32 v94, 0xba95, v56
	v_fma_f16 v66, v60, 0xb5ac, -v66
	v_fmamk_f16 v95, v60, 0x3b15, v73
	v_fma_f16 v73, v60, 0x3b15, -v73
	v_sub_f16_e32 v57, v63, v57
	v_fma_f16 v63, v60, 0x388b, -v94
	v_add_f16_e32 v39, v66, v39
	v_add_f16_e32 v66, v95, v81
	v_mul_f16_e32 v81, 0xb94e, v56
	v_add_f16_e32 v80, v90, v80
	v_fmamk_f16 v90, v60, 0x388b, v94
	v_add_f16_e32 v73, v73, v76
	v_add_f16_e32 v59, v65, v59
	v_fmamk_f16 v76, v60, 0xb9fd, v81
	v_fma_f16 v81, v60, 0xb9fd, -v81
	v_mul_f16_e32 v65, 0x3770, v57
	v_add_f16_e32 v63, v63, v68
	v_mul_f16_e32 v68, 0xbbf1, v57
	v_add_f16_e32 v64, v90, v64
	v_add_f16_e32 v69, v76, v69
	;; [unrolled: 1-line block ×3, first 2 shown]
	v_fmamk_f16 v81, v59, 0x3b15, v65
	v_fma_f16 v65, v59, 0x3b15, -v65
	v_fmamk_f16 v90, v59, 0x2fb7, v68
	v_mul_f16_e32 v93, 0x33a8, v57
	v_fma_f16 v68, v59, 0x2fb7, -v68
	v_sub_f16_e32 v5, v5, v7
	v_add_f16_e32 v39, v65, v39
	v_add_f16_e32 v65, v90, v66
	v_fmamk_f16 v66, v59, 0xbbc4, v93
	v_add_f16_e32 v68, v68, v73
	v_mul_f16_e32 v7, 0x3a95, v57
	v_fma_f16 v73, v59, 0xbbc4, -v93
	v_add_f16_e32 v4, v4, v6
	v_mul_f16_e32 v6, 0xba95, v5
	v_add_f16_e32 v80, v81, v80
	v_add_f16_e32 v64, v66, v64
	v_fmamk_f16 v66, v59, 0x388b, v7
	v_add_f16_e32 v63, v73, v63
	v_mul_f16_e32 v73, 0x33a8, v5
	v_fma_f16 v7, v59, 0x388b, -v7
	v_fmamk_f16 v81, v4, 0x388b, v6
	v_add_f16_e32 v66, v66, v69
	v_fma_f16 v6, v4, 0x388b, -v6
	v_fmamk_f16 v69, v4, 0xbbc4, v73
	v_add_f16_e32 v7, v7, v76
	v_add_f16_e32 v76, v81, v80
	v_mul_f16_e32 v80, 0x3770, v5
	v_add_f16_e32 v6, v6, v39
	v_add_f16_e32 v65, v69, v65
	v_fma_f16 v39, v4, 0xbbc4, -v73
	v_mul_f16_e32 v69, 0xbb7b, v5
	v_fmamk_f16 v73, v4, 0x3b15, v80
	v_pk_mul_f16 v55, 0xb770ba95, v55 op_sel_hi:[1,0]
	v_pk_mul_f16 v58, 0xba95bb7b, v58 op_sel_hi:[1,0]
	v_add_f16_e32 v68, v39, v68
	v_fmamk_f16 v39, v4, 0xb5ac, v69
	v_add_f16_e32 v64, v73, v64
	v_pk_fma_f16 v73, 0x3b15388b, v70, v55 op_sel_hi:[1,0,1]
	v_add_f16_e32 v0, v0, v3
	v_sub_f16_e32 v1, v1, v2
	v_add_f16_e32 v66, v39, v66
	v_pk_fma_f16 v2, 0x388bb5ac, v61, v58 op_sel_hi:[1,0,1]
	v_lshrrev_b32_e32 v3, 16, v73
	v_pk_fma_f16 v39, 0x3b15388b, v70, v55 op_sel_hi:[1,0,1] neg_lo:[0,0,1] neg_hi:[0,0,1]
	v_pk_mul_f16 v55, 0xbbf1b3a8, v56 op_sel_hi:[1,0]
	v_add_f16_e32 v56, v67, v73
	v_lshrrev_b32_e32 v70, 16, v2
	v_add_f16_e32 v3, v67, v3
	v_pk_add_f16 v39, v67, v39 op_sel_hi:[0,1]
	v_pk_fma_f16 v67, 0x2fb7bbc4, v60, v55 op_sel_hi:[1,0,1]
	v_pk_mul_f16 v57, 0xbb7b394e, v57 op_sel_hi:[1,0]
	v_pk_fma_f16 v58, 0x388bb5ac, v61, v58 op_sel_hi:[1,0,1] neg_lo:[0,0,1] neg_hi:[0,0,1]
	v_add_f16_e32 v3, v70, v3
	v_add_f16_e32 v2, v2, v56
	v_lshrrev_b32_e32 v56, 16, v67
	v_pk_fma_f16 v61, 0xb5acb9fd, v59, v57 op_sel_hi:[1,0,1]
	v_pk_add_f16 v39, v58, v39
	v_pk_mul_f16 v5, 0xb94e3bf1, v5 op_sel_hi:[1,0]
	v_pk_fma_f16 v55, 0x2fb7bbc4, v60, v55 op_sel_hi:[1,0,1] neg_lo:[0,0,1] neg_hi:[0,0,1]
	v_add_f16_e32 v3, v56, v3
	v_lshrrev_b32_e32 v56, 16, v61
	v_fma_f16 v80, v4, 0x3b15, -v80
	v_pk_fma_f16 v58, 0xb9fd2fb7, v4, v5 op_sel_hi:[1,0,1]
	v_pk_add_f16 v39, v55, v39
	v_pk_mul_f16 v55, 0xb3a83770, v1 op_sel_hi:[1,0]
	v_add_f16_e32 v3, v56, v3
	v_pk_fma_f16 v56, 0xb5acb9fd, v59, v57 op_sel_hi:[1,0,1] neg_lo:[0,0,1] neg_hi:[0,0,1]
	v_lshrrev_b32_e32 v57, 16, v58
	v_fma_f16 v59, v4, 0xb5ac, -v69
	v_pk_fma_f16 v60, 0xbbc43b15, v0, v55 op_sel_hi:[1,0,1]
	v_pk_fma_f16 v4, 0xb9fd2fb7, v4, v5 op_sel_hi:[1,0,1] neg_lo:[0,0,1] neg_hi:[0,0,1]
	v_pk_add_f16 v39, v56, v39
	v_add_f16_e32 v3, v57, v3
	v_mul_f16_e32 v56, 0xb94e, v1
	v_lshrrev_b32_e32 v5, 16, v60
	v_add_f16_e32 v2, v67, v2
	v_pk_add_f16 v4, v4, v39
	v_add_f16_e32 v63, v80, v63
	v_fmamk_f16 v57, v0, 0xb9fd, v56
	v_add_f16_e32 v3, v5, v3
	v_pk_fma_f16 v5, 0xbbc43b15, v0, v55 op_sel_hi:[1,0,1] neg_lo:[0,0,1] neg_hi:[0,0,1]
	v_mul_f16_e32 v55, 0x3a95, v1
	v_fma_f16 v56, v0, 0xb9fd, -v56
	v_add_f16_e32 v2, v61, v2
	v_add_f16_e32 v7, v59, v7
	v_pk_add_f16 v39, v5, v4
	v_add_f16_e32 v5, v57, v76
	v_mul_f16_e32 v57, 0xbb7b, v1
	v_mul_f16_e32 v1, 0x3bf1, v1
	v_fmamk_f16 v4, v0, 0x388b, v55
	v_add_f16_e32 v6, v56, v6
	v_fma_f16 v55, v0, 0x388b, -v55
	v_fmamk_f16 v56, v0, 0xb5ac, v57
	v_fma_f16 v57, v0, 0xb5ac, -v57
	v_add_f16_e32 v2, v58, v2
	v_fmamk_f16 v58, v0, 0x2fb7, v1
	v_fma_f16 v0, v0, 0x2fb7, -v1
	v_add_f16_e32 v1, v55, v68
	v_add_f16_e32 v55, v56, v64
	;; [unrolled: 1-line block ×7, first 2 shown]
	global_wb scope:SCOPE_SE
	s_wait_dscnt 0x0
	s_barrier_signal -1
	s_barrier_wait -1
	global_inv scope:SCOPE_SE
	ds_store_b16 v82, v40
	ds_store_b16 v82, v78 offset:52
	ds_store_b16 v82, v83 offset:104
	;; [unrolled: 1-line block ×12, first 2 shown]
	ds_store_b16 v85, v62
	ds_store_b16 v85, v3 offset:52
	ds_store_b16 v85, v2 offset:104
	;; [unrolled: 1-line block ×7, first 2 shown]
	v_add_nc_u32_e32 v0, v36, v92
	v_lshrrev_b32_e32 v40, 16, v39
	ds_store_b16 v85, v56 offset:416
	ds_store_b16 v85, v1 offset:468
	;; [unrolled: 1-line block ×5, first 2 shown]
	global_wb scope:SCOPE_SE
	s_wait_dscnt 0x0
	s_barrier_signal -1
	s_barrier_wait -1
	global_inv scope:SCOPE_SE
	v_add_nc_u32_e32 v1, v35, v42
	ds_load_u16 v57, v37 offset:2132
	ds_load_u16 v63, v37 offset:2236
	ds_load_u16 v60, v88
	ds_load_u16 v66, v0
	;; [unrolled: 1-line block ×3, first 2 shown]
	ds_load_u16 v56, v37 offset:676
	ds_load_u16 v58, v37 offset:780
	;; [unrolled: 1-line block ×11, first 2 shown]
	ds_load_u16 v55, v1
	ds_load_u16 v69, v89
	ds_load_u16 v61, v37 offset:1352
	ds_load_u16 v75, v37 offset:1196
	;; [unrolled: 1-line block ×4, first 2 shown]
	ds_load_u16 v38, v38
	ds_load_u16 v76, v37 offset:2548
                                        ; implicit-def: $vgpr35
                                        ; implicit-def: $vgpr36
	s_and_saveexec_b32 s1, s0
	s_cbranch_execz .LBB0_17
; %bb.16:
	ds_load_u16 v40, v37 offset:1300
	ds_load_u16 v35, v37 offset:1976
	ds_load_u16 v39, v41
	ds_load_u16 v36, v37 offset:2652
	v_mov_b32_e32 v45, v34
.LBB0_17:
	s_wait_alu 0xfffe
	s_or_b32 exec_lo, exec_lo, s1
	s_and_saveexec_b32 s0, vcc_lo
	s_cbranch_execz .LBB0_20
; %bb.18:
	v_mul_i32_i24_e32 v6, 3, v33
	v_mov_b32_e32 v7, 0
	v_add_nc_u32_e32 v37, 0x68, v28
	v_add_nc_u32_e32 v115, 0x9c, v28
	v_lshlrev_b64_e32 v[24:25], 2, v[24:25]
	s_delay_alu instid0(VALU_DEP_4) | instskip(SKIP_3) | instid1(VALU_DEP_3)
	v_lshlrev_b64_e32 v[0:1], 2, v[6:7]
	v_mul_i32_i24_e32 v6, 3, v32
	v_mul_hi_u32 v86, 0x60f25deb, v37
	v_mul_hi_u32 v87, 0x60f25deb, v115
	v_lshlrev_b64_e32 v[3:4], 2, v[6:7]
	v_add_co_u32 v0, vcc_lo, s4, v0
	s_wait_alu 0xfffd
	v_add_co_ci_u32_e32 v1, vcc_lo, s5, v1, vcc_lo
	v_mul_i32_i24_e32 v6, 3, v31
	s_delay_alu instid0(VALU_DEP_4)
	v_add_co_u32 v3, vcc_lo, s4, v3
	s_wait_alu 0xfffd
	v_add_co_ci_u32_e32 v4, vcc_lo, s5, v4, vcc_lo
	global_load_b96 v[0:2], v[0:1], off offset:1344
	v_lshrrev_b32_e32 v90, 7, v86
	v_lshrrev_b32_e32 v116, 7, v87
	global_load_b96 v[31:33], v[3:4], off offset:1344
	v_lshlrev_b64_e32 v[3:4], 2, v[6:7]
	v_mul_i32_i24_e32 v6, 3, v30
	s_delay_alu instid0(VALU_DEP_1) | instskip(SKIP_1) | instid1(VALU_DEP_4)
	v_lshlrev_b64_e32 v[77:78], 2, v[6:7]
	v_mul_i32_i24_e32 v6, 3, v29
	v_add_co_u32 v3, vcc_lo, s4, v3
	s_wait_alu 0xfffd
	v_add_co_ci_u32_e32 v4, vcc_lo, s5, v4, vcc_lo
	s_delay_alu instid0(VALU_DEP_3)
	v_lshlrev_b64_e32 v[29:30], 2, v[6:7]
	v_add_co_u32 v77, vcc_lo, s4, v77
	global_load_b96 v[3:5], v[3:4], off offset:1344
	s_wait_alu 0xfffd
	v_add_co_ci_u32_e32 v78, vcc_lo, s5, v78, vcc_lo
	v_mul_u32_u24_e32 v6, 3, v28
	v_add_co_u32 v29, vcc_lo, s4, v29
	global_load_b96 v[77:79], v[77:78], off offset:1344
	s_wait_alu 0xfffd
	v_add_co_ci_u32_e32 v30, vcc_lo, s5, v30, vcc_lo
	v_lshlrev_b32_e32 v6, 2, v6
	s_clause 0x1
	global_load_b96 v[80:82], v[29:30], off offset:1344
	global_load_b96 v[83:85], v6, s[4:5] offset:1344
	v_mul_hi_u32 v30, 0x60f25deb, v28
	v_mul_lo_u32 v6, s3, v26
	v_mul_lo_u32 v29, s2, v27
	v_mad_co_u64_u32 v[26:27], null, s2, v26, 0
	s_delay_alu instid0(VALU_DEP_4) | instskip(NEXT) | instid1(VALU_DEP_2)
	v_lshrrev_b32_e32 v30, 7, v30
	v_add3_u32 v27, v27, v29, v6
	v_mul_u32_u24_e32 v29, 0x152, v90
	s_delay_alu instid0(VALU_DEP_3) | instskip(NEXT) | instid1(VALU_DEP_3)
	v_mul_u32_u24_e32 v6, 0x152, v30
	v_lshlrev_b64_e32 v[26:27], 2, v[26:27]
	s_delay_alu instid0(VALU_DEP_2) | instskip(NEXT) | instid1(VALU_DEP_2)
	v_sub_nc_u32_e32 v94, v28, v6
	v_add_co_u32 v30, vcc_lo, s10, v26
	s_wait_alu 0xfffd
	s_delay_alu instid0(VALU_DEP_3) | instskip(NEXT) | instid1(VALU_DEP_3)
	v_add_co_ci_u32_e32 v86, vcc_lo, s11, v27, vcc_lo
	v_add_nc_u32_e32 v109, 0x2a4, v94
	s_delay_alu instid0(VALU_DEP_3) | instskip(SKIP_1) | instid1(VALU_DEP_3)
	v_add_co_u32 v24, vcc_lo, v30, v24
	s_wait_alu 0xfffd
	v_add_co_ci_u32_e32 v25, vcc_lo, v86, v25, vcc_lo
	s_delay_alu instid0(VALU_DEP_3) | instskip(SKIP_3) | instid1(VALU_DEP_3)
	v_mad_co_u64_u32 v[86:87], null, s16, v109, 0
	v_add_nc_u32_e32 v34, 52, v28
	v_add_nc_u32_e32 v110, 0x3f6, v94
	v_mad_co_u64_u32 v[26:27], null, s16, v94, 0
	v_mul_hi_u32 v41, 0x60f25deb, v34
	s_delay_alu instid0(VALU_DEP_3) | instskip(SKIP_1) | instid1(VALU_DEP_3)
	v_mad_co_u64_u32 v[88:89], null, s16, v110, 0
	v_add_nc_u32_e32 v107, 0x152, v94
	v_lshrrev_b32_e32 v41, 7, v41
	s_delay_alu instid0(VALU_DEP_1) | instskip(NEXT) | instid1(VALU_DEP_1)
	v_mul_u32_u24_e32 v6, 0x152, v41
	v_sub_nc_u32_e32 v6, v34, v6
	v_sub_nc_u32_e32 v34, v37, v29
	v_mad_co_u64_u32 v[29:30], null, s16, v107, 0
	s_delay_alu instid0(VALU_DEP_3) | instskip(NEXT) | instid1(VALU_DEP_3)
	v_mad_u32_u24 v37, 0x548, v41, v6
	v_mad_u32_u24 v41, 0x548, v90, v34
	v_dual_mov_b32 v6, v27 :: v_dual_mov_b32 v27, v87
	s_delay_alu instid0(VALU_DEP_3) | instskip(NEXT) | instid1(VALU_DEP_3)
	v_mad_co_u64_u32 v[90:91], null, s16, v37, 0
	v_mad_co_u64_u32 v[92:93], null, s16, v41, 0
	v_add_nc_u32_e32 v117, 0x152, v41
	s_delay_alu instid0(VALU_DEP_4) | instskip(SKIP_2) | instid1(VALU_DEP_4)
	v_mad_co_u64_u32 v[94:95], null, s17, v94, v[6:7]
	v_mov_b32_e32 v6, v30
	v_mov_b32_e32 v30, v89
	v_mad_co_u64_u32 v[101:102], null, s16, v117, 0
	v_add_nc_u32_e32 v113, 0x2a4, v37
	s_delay_alu instid0(VALU_DEP_4) | instskip(SKIP_4) | instid1(VALU_DEP_2)
	v_mad_co_u64_u32 v[107:108], null, s17, v107, v[6:7]
	v_mov_b32_e32 v6, v91
	v_mad_co_u64_u32 v[108:109], null, s17, v109, v[27:28]
	v_dual_mov_b32 v27, v94 :: v_dual_add_nc_u32 v114, 0x3f6, v37
	v_add_nc_u32_e32 v118, 0x2a4, v41
	v_lshlrev_b64_e32 v[26:27], 2, v[26:27]
	s_delay_alu instid0(VALU_DEP_2) | instskip(SKIP_1) | instid1(VALU_DEP_3)
	v_mad_co_u64_u32 v[103:104], null, s16, v118, 0
	v_mov_b32_e32 v87, v108
	v_add_co_u32 v26, vcc_lo, v24, v26
	s_wait_alu 0xfffd
	s_delay_alu instid0(VALU_DEP_4) | instskip(NEXT) | instid1(VALU_DEP_4)
	v_add_co_ci_u32_e32 v27, vcc_lo, v25, v27, vcc_lo
	v_mov_b32_e32 v91, v104
	v_lshlrev_b64_e32 v[86:87], 2, v[86:87]
	s_wait_loadcnt 0x4
	v_mad_co_u64_u32 v[109:110], null, s17, v110, v[30:31]
	v_mov_b32_e32 v30, v93
	v_mad_co_u64_u32 v[97:98], null, s16, v113, 0
	v_add_nc_u32_e32 v119, 0x3f6, v41
	v_mad_co_u64_u32 v[93:94], null, s17, v37, v[6:7]
	s_delay_alu instid0(VALU_DEP_4) | instskip(NEXT) | instid1(VALU_DEP_4)
	v_mad_co_u64_u32 v[110:111], null, s17, v41, v[30:31]
	v_dual_mov_b32 v41, v102 :: v_dual_mov_b32 v34, v98
	v_mad_co_u64_u32 v[99:100], null, s16, v114, 0
	v_add_nc_u32_e32 v112, 0x152, v37
	v_mov_b32_e32 v30, v107
	v_mad_co_u64_u32 v[105:106], null, s16, v119, 0
	s_delay_alu instid0(VALU_DEP_4) | instskip(NEXT) | instid1(VALU_DEP_4)
	v_mov_b32_e32 v37, v100
	v_mad_co_u64_u32 v[95:96], null, s16, v112, 0
	s_delay_alu instid0(VALU_DEP_4) | instskip(NEXT) | instid1(VALU_DEP_2)
	v_lshlrev_b64_e32 v[29:30], 2, v[29:30]
	v_mov_b32_e32 v6, v96
	s_delay_alu instid0(VALU_DEP_2) | instskip(SKIP_1) | instid1(VALU_DEP_3)
	v_add_co_u32 v29, vcc_lo, v24, v29
	s_wait_alu 0xfffd
	v_add_co_ci_u32_e32 v30, vcc_lo, v25, v30, vcc_lo
	s_delay_alu instid0(VALU_DEP_3)
	v_mad_co_u64_u32 v[107:108], null, s17, v112, v[6:7]
	s_wait_dscnt 0x1
	v_mad_co_u64_u32 v[111:112], null, s17, v114, v[37:38]
	v_mov_b32_e32 v89, v109
	v_mad_co_u64_u32 v[108:109], null, s17, v113, v[34:35]
	v_mad_co_u64_u32 v[112:113], null, s17, v117, v[41:42]
	v_mov_b32_e32 v96, v107
	v_mad_co_u64_u32 v[113:114], null, s17, v118, v[91:92]
	s_delay_alu instid0(VALU_DEP_4) | instskip(SKIP_3) | instid1(VALU_DEP_4)
	v_dual_mov_b32 v91, v93 :: v_dual_mov_b32 v98, v108
	v_dual_mov_b32 v93, v110 :: v_dual_mov_b32 v100, v111
	v_mov_b32_e32 v102, v112
	v_lshlrev_b64_e32 v[94:95], 2, v[95:96]
	v_lshlrev_b64_e32 v[96:97], 2, v[97:98]
	v_lshrrev_b32_e32 v6, 16, v0
	v_lshlrev_b64_e32 v[98:99], 2, v[99:100]
	v_lshlrev_b64_e32 v[100:101], 2, v[101:102]
	v_lshrrev_b32_e32 v34, 16, v1
	v_lshrrev_b32_e32 v37, 16, v2
	v_mul_f16_e32 v41, v75, v0
	s_wait_dscnt 0x0
	v_mul_f16_e32 v102, v76, v2
	v_lshrrev_b32_e32 v107, 16, v33
	v_mul_f16_e32 v104, v74, v34
	v_mul_f16_e32 v34, v54, v34
	v_fmac_f16_e32 v41, v52, v6
	v_fmac_f16_e32 v102, v53, v37
	v_mul_f16_e32 v6, v75, v6
	v_mul_f16_e32 v37, v76, v37
	v_lshrrev_b32_e32 v75, 16, v31
	v_lshrrev_b32_e32 v76, 16, v32
	v_mul_f16_e32 v108, v72, v31
	v_mul_f16_e32 v109, v73, v33
	v_fma_f16 v54, v54, v1, -v104
	v_fmac_f16_e32 v34, v74, v1
	v_fma_f16 v0, v52, v0, -v6
	v_fma_f16 v1, v53, v2, -v37
	v_mul_f16_e32 v2, v71, v76
	v_mul_f16_e32 v6, v51, v76
	;; [unrolled: 1-line block ×4, first 2 shown]
	s_wait_loadcnt 0x3
	v_lshrrev_b32_e32 v53, 16, v3
	v_lshrrev_b32_e32 v72, 16, v4
	;; [unrolled: 1-line block ×3, first 2 shown]
	v_sub_f16_e32 v102, v41, v102
	v_fmac_f16_e32 v108, v49, v75
	v_fmac_f16_e32 v109, v50, v107
	v_mul_f16_e32 v74, v70, v5
	v_sub_f16_e32 v54, v43, v54
	v_sub_f16_e32 v34, v69, v34
	;; [unrolled: 1-line block ×3, first 2 shown]
	v_fma_f16 v2, v51, v32, -v2
	v_fmac_f16_e32 v6, v71, v32
	v_fma_f16 v31, v49, v31, -v37
	v_fma_f16 v32, v50, v33, -v52
	v_mul_f16_e32 v33, v68, v72
	v_mul_f16_e32 v37, v46, v53
	;; [unrolled: 1-line block ×5, first 2 shown]
	s_wait_loadcnt 0x2
	v_lshrrev_b32_e32 v53, 16, v77
	v_lshrrev_b32_e32 v70, 16, v78
	;; [unrolled: 1-line block ×3, first 2 shown]
	v_fma_f16 v41, v41, 2.0, -v102
	v_sub_f16_e32 v51, v108, v109
	v_fmac_f16_e32 v74, v48, v73
	v_add_f16_e32 v73, v34, v1
	v_fma_f16 v43, v43, 2.0, -v54
	v_fma_f16 v0, v0, 2.0, -v1
	;; [unrolled: 1-line block ×3, first 2 shown]
	v_sub_f16_e32 v2, v44, v2
	v_sub_f16_e32 v6, v66, v6
	;; [unrolled: 1-line block ×3, first 2 shown]
	v_fma_f16 v33, v47, v4, -v33
	v_fmac_f16_e32 v37, v67, v3
	v_fmac_f16_e32 v49, v68, v4
	v_fma_f16 v3, v46, v3, -v50
	v_fma_f16 v4, v48, v5, -v52
	v_mul_f16_e32 v5, v65, v70
	v_mul_f16_e32 v46, v21, v53
	;; [unrolled: 1-line block ×6, first 2 shown]
	s_wait_loadcnt 0x1
	v_lshrrev_b32_e32 v53, 16, v80
	v_lshrrev_b32_e32 v67, 16, v81
	;; [unrolled: 1-line block ×3, first 2 shown]
	s_wait_loadcnt 0x0
	v_lshrrev_b32_e32 v70, 16, v83
	v_lshrrev_b32_e32 v71, 16, v84
	;; [unrolled: 1-line block ×3, first 2 shown]
	v_sub_f16_e32 v72, v54, v102
	v_fma_f16 v69, v108, 2.0, -v51
	v_sub_f16_e32 v76, v43, v0
	v_sub_f16_e32 v41, v1, v41
	;; [unrolled: 1-line block ×3, first 2 shown]
	v_add_f16_e32 v102, v6, v32
	v_fma_f16 v0, v44, 2.0, -v2
	v_fma_f16 v31, v31, 2.0, -v32
	;; [unrolled: 1-line block ×3, first 2 shown]
	v_sub_f16_e32 v33, v22, v33
	v_sub_f16_e32 v44, v37, v74
	;; [unrolled: 1-line block ×4, first 2 shown]
	v_fma_f16 v5, v23, v78, -v5
	v_fmac_f16_e32 v46, v64, v77
	v_fmac_f16_e32 v47, v63, v79
	;; [unrolled: 1-line block ×3, first 2 shown]
	v_fma_f16 v21, v21, v77, -v50
	v_fma_f16 v19, v19, v79, -v52
	v_mul_f16_e32 v23, v59, v67
	v_mul_f16_e32 v50, v14, v53
	;; [unrolled: 1-line block ×12, first 2 shown]
	v_fma_f16 v74, v1, 2.0, -v41
	v_fma_f16 v75, v2, 2.0, -v51
	;; [unrolled: 1-line block ×3, first 2 shown]
	v_sub_f16_e32 v31, v0, v31
	v_add_f16_e32 v79, v49, v4
	v_fma_f16 v1, v22, 2.0, -v33
	v_fma_f16 v2, v3, 2.0, -v4
	;; [unrolled: 1-line block ×4, first 2 shown]
	v_sub_f16_e32 v5, v15, v5
	v_sub_f16_e32 v6, v46, v47
	;; [unrolled: 1-line block ×4, first 2 shown]
	v_fma_f16 v16, v16, v81, -v23
	v_fmac_f16_e32 v63, v59, v81
	v_fma_f16 v14, v14, v80, -v53
	v_fma_f16 v20, v20, v82, -v64
	;; [unrolled: 1-line block ×3, first 2 shown]
	v_fmac_f16_e32 v66, v56, v83
	v_fmac_f16_e32 v67, v62, v85
	;; [unrolled: 1-line block ×3, first 2 shown]
	v_fma_f16 v12, v12, v83, -v70
	v_fma_f16 v17, v17, v85, -v71
	v_fmac_f16_e32 v50, v58, v80
	v_fmac_f16_e32 v52, v57, v82
	v_sub_f16_e32 v78, v33, v44
	v_fma_f16 v23, v0, 2.0, -v31
	v_fma_f16 v37, v49, 2.0, -v79
	v_sub_f16_e32 v44, v1, v2
	v_sub_f16_e32 v47, v3, v4
	;; [unrolled: 1-line block ×3, first 2 shown]
	v_add_f16_e32 v49, v22, v19
	v_fma_f16 v0, v15, 2.0, -v5
	v_fma_f16 v2, v21, 2.0, -v19
	;; [unrolled: 1-line block ×3, first 2 shown]
	v_sub_f16_e32 v15, v13, v16
	v_sub_f16_e32 v19, v38, v63
	;; [unrolled: 1-line block ×7, first 2 shown]
	v_lshlrev_b64_e32 v[88:89], 2, v[88:89]
	v_lshlrev_b64_e32 v[90:91], 2, v[90:91]
	v_add_co_u32 v86, vcc_lo, v24, v86
	v_sub_f16_e32 v16, v50, v52
	v_fma_f16 v4, v55, 2.0, -v22
	v_fma_f16 v53, v3, 2.0, -v47
	v_sub_f16_e32 v55, v0, v2
	v_add_f16_e32 v2, v19, v20
	v_fma_f16 v3, v13, 2.0, -v15
	v_fma_f16 v13, v14, 2.0, -v20
	;; [unrolled: 1-line block ×3, first 2 shown]
	v_sub_f16_e32 v20, v18, v21
	v_add_f16_e32 v38, v46, v17
	v_fma_f16 v11, v11, 2.0, -v18
	v_fma_f16 v12, v12, 2.0, -v17
	v_fma_f16 v17, v42, 2.0, -v46
	v_fma_f16 v21, v66, 2.0, -v21
	s_wait_alu 0xfffd
	v_add_co_ci_u32_e32 v87, vcc_lo, v25, v87, vcc_lo
	v_lshlrev_b64_e32 v[92:93], 2, v[92:93]
	v_add_co_u32 v88, vcc_lo, v24, v88
	s_wait_alu 0xfffd
	v_add_co_ci_u32_e32 v89, vcc_lo, v25, v89, vcc_lo
	v_fma_f16 v52, v1, 2.0, -v44
	v_sub_f16_e32 v1, v15, v16
	v_fma_f16 v16, v50, 2.0, -v16
	v_add_co_u32 v90, vcc_lo, v24, v90
	v_sub_f16_e32 v12, v11, v12
	v_sub_f16_e32 v21, v17, v21
	s_wait_alu 0xfffd
	v_add_co_ci_u32_e32 v91, vcc_lo, v25, v91, vcc_lo
	v_add_co_u32 v92, vcc_lo, v24, v92
	v_sub_f16_e32 v6, v4, v6
	v_sub_f16_e32 v13, v3, v13
	;; [unrolled: 1-line block ×3, first 2 shown]
	s_wait_alu 0xfffd
	v_add_co_ci_u32_e32 v93, vcc_lo, v25, v93, vcc_lo
	v_fma_f16 v15, v15, 2.0, -v1
	v_fma_f16 v19, v19, 2.0, -v2
	;; [unrolled: 1-line block ×4, first 2 shown]
	v_pack_b32_f16 v20, v20, v38
	v_pack_b32_f16 v38, v1, v2
	v_fma_f16 v1, v11, 2.0, -v12
	v_fma_f16 v2, v17, 2.0, -v21
	v_add_co_u32 v94, vcc_lo, v24, v94
	s_wait_alu 0xfffd
	v_add_co_ci_u32_e32 v95, vcc_lo, v25, v95, vcc_lo
	v_add_co_u32 v96, vcc_lo, v24, v96
	v_fma_f16 v0, v0, 2.0, -v55
	v_fma_f16 v4, v4, 2.0, -v6
	;; [unrolled: 1-line block ×4, first 2 shown]
	v_pack_b32_f16 v1, v1, v2
	s_wait_alu 0xfffd
	v_add_co_ci_u32_e32 v97, vcc_lo, v25, v97, vcc_lo
	v_pack_b32_f16 v14, v18, v42
	v_add_co_u32 v98, vcc_lo, v24, v98
	v_pack_b32_f16 v12, v12, v21
	s_wait_alu 0xfffd
	v_add_co_ci_u32_e32 v99, vcc_lo, v25, v99, vcc_lo
	v_pack_b32_f16 v2, v15, v19
	v_add_nc_u32_e32 v19, 0xd0, v28
	v_pack_b32_f16 v15, v0, v4
	v_pack_b32_f16 v0, v3, v11
	v_pack_b32_f16 v13, v13, v16
	s_clause 0x6
	global_store_b32 v[26:27], v1, off
	global_store_b32 v[29:30], v14, off
	;; [unrolled: 1-line block ×7, first 2 shown]
	v_mov_b32_e32 v0, v106
	v_mul_u32_u24_e32 v11, 0x152, v116
	v_add_co_u32 v1, vcc_lo, v24, v100
	v_fma_f16 v5, v5, 2.0, -v48
	v_fma_f16 v22, v22, 2.0, -v49
	v_mov_b32_e32 v104, v113
	s_delay_alu instid0(VALU_DEP_4)
	v_mad_co_u64_u32 v[3:4], null, s17, v119, v[0:1]
	v_sub_nc_u32_e32 v0, v115, v11
	s_wait_alu 0xfffd
	v_add_co_ci_u32_e32 v2, vcc_lo, v25, v101, vcc_lo
	v_pack_b32_f16 v11, v5, v22
	v_lshlrev_b64_e32 v[4:5], 2, v[103:104]
	v_mad_u32_u24 v18, 0x548, v116, v0
	s_clause 0x1
	global_store_b32 v[98:99], v38, off
	global_store_b32 v[92:93], v15, off
	v_mov_b32_e32 v106, v3
	global_store_b32 v[1:2], v11, off
	v_mul_hi_u32 v21, 0x60f25deb, v19
	v_add_nc_u32_e32 v16, 0x152, v18
	v_mad_co_u64_u32 v[0:1], null, s16, v18, 0
	v_add_co_u32 v2, vcc_lo, v24, v4
	s_delay_alu instid0(VALU_DEP_3)
	v_mad_co_u64_u32 v[11:12], null, s16, v16, 0
	s_wait_alu 0xfffd
	v_add_co_ci_u32_e32 v3, vcc_lo, v25, v5, vcc_lo
	v_lshlrev_b64_e32 v[4:5], 2, v[105:106]
	v_mad_co_u64_u32 v[13:14], null, s17, v18, v[1:2]
	v_pack_b32_f16 v6, v55, v6
	v_mov_b32_e32 v1, v12
	v_pack_b32_f16 v12, v48, v49
	v_add_co_u32 v4, vcc_lo, v24, v4
	s_wait_alu 0xfffd
	v_add_co_ci_u32_e32 v5, vcc_lo, v25, v5, vcc_lo
	v_mad_co_u64_u32 v[16:17], null, s17, v16, v[1:2]
	v_lshrrev_b32_e32 v17, 7, v21
	v_add_nc_u32_e32 v20, 0x2a4, v18
	s_clause 0x1
	global_store_b32 v[2:3], v6, off
	global_store_b32 v[4:5], v12, off
	v_mov_b32_e32 v1, v13
	v_fma_f16 v33, v33, 2.0, -v78
	v_mul_u32_u24_e32 v4, 0x152, v17
	v_mad_co_u64_u32 v[14:15], null, s16, v20, 0
	s_delay_alu instid0(VALU_DEP_4) | instskip(NEXT) | instid1(VALU_DEP_4)
	v_lshlrev_b64_e32 v[0:1], 2, v[0:1]
	v_pack_b32_f16 v22, v33, v37
	s_delay_alu instid0(VALU_DEP_4)
	v_sub_nc_u32_e32 v5, v19, v4
	v_sub_f16_e32 v69, v32, v69
	v_fma_f16 v43, v43, 2.0, -v76
	v_fma_f16 v54, v54, 2.0, -v72
	v_add_co_u32 v0, vcc_lo, v24, v0
	v_mad_u32_u24 v21, 0x548, v17, v5
	v_mov_b32_e32 v2, v15
	v_mov_b32_e32 v12, v16
	v_add_nc_u32_e32 v16, 0x3f6, v18
	s_wait_alu 0xfffd
	v_add_co_ci_u32_e32 v1, vcc_lo, v25, v1, vcc_lo
	v_mad_co_u64_u32 v[2:3], null, s17, v20, v[2:3]
	v_lshlrev_b64_e32 v[3:4], 2, v[11:12]
	v_mad_co_u64_u32 v[5:6], null, s16, v16, 0
	v_mad_co_u64_u32 v[11:12], null, s16, v21, 0
	s_delay_alu instid0(VALU_DEP_4) | instskip(NEXT) | instid1(VALU_DEP_4)
	v_dual_mov_b32 v15, v2 :: v_dual_add_nc_u32 v26, 0x152, v21
	v_add_co_u32 v2, vcc_lo, v24, v3
	s_wait_alu 0xfffd
	v_add_co_ci_u32_e32 v3, vcc_lo, v25, v4, vcc_lo
	v_mov_b32_e32 v4, v6
	v_lshlrev_b64_e32 v[13:14], 2, v[14:15]
	v_pack_b32_f16 v20, v52, v53
	s_clause 0x1
	global_store_b32 v[0:1], v20, off
	global_store_b32 v[2:3], v22, off
	v_mad_co_u64_u32 v[15:16], null, s17, v16, v[4:5]
	v_mov_b32_e32 v4, v12
	v_mad_co_u64_u32 v[16:17], null, s16, v26, 0
	v_add_co_u32 v12, vcc_lo, v24, v13
	s_delay_alu instid0(VALU_DEP_3)
	v_mad_co_u64_u32 v[18:19], null, s17, v21, v[4:5]
	v_mov_b32_e32 v6, v15
	s_wait_alu 0xfffd
	v_add_co_ci_u32_e32 v13, vcc_lo, v25, v14, vcc_lo
	v_pack_b32_f16 v4, v44, v47
	v_mov_b32_e32 v0, v17
	v_lshlrev_b64_e32 v[1:2], 2, v[5:6]
	v_add_nc_u32_e32 v15, 0x2a4, v21
	v_add_nc_u32_e32 v19, 0x3f6, v21
	global_store_b32 v[12:13], v4, off
	v_mov_b32_e32 v12, v18
	v_add_nc_u32_e32 v18, 0x104, v28
	v_mad_co_u64_u32 v[3:4], null, s17, v26, v[0:1]
	v_add_co_u32 v0, vcc_lo, v24, v1
	s_delay_alu instid0(VALU_DEP_3)
	v_mul_hi_u32 v13, 0x60f25deb, v18
	v_lshlrev_b64_e32 v[4:5], 2, v[11:12]
	s_wait_alu 0xfffd
	v_add_co_ci_u32_e32 v1, vcc_lo, v25, v2, vcc_lo
	v_mov_b32_e32 v17, v3
	v_mad_co_u64_u32 v[2:3], null, s16, v15, 0
	s_delay_alu instid0(VALU_DEP_4) | instskip(SKIP_3) | instid1(VALU_DEP_4)
	v_add_co_u32 v4, vcc_lo, v24, v4
	v_mad_co_u64_u32 v[11:12], null, s16, v19, 0
	v_lshrrev_b32_e32 v21, 7, v13
	v_lshlrev_b64_e32 v[13:14], 2, v[16:17]
	v_mad_co_u64_u32 v[15:16], null, s17, v15, v[3:4]
	s_wait_alu 0xfffd
	v_add_co_ci_u32_e32 v5, vcc_lo, v25, v5, vcc_lo
	v_mul_u32_u24_e32 v16, 0x152, v21
	v_mov_b32_e32 v3, v12
	v_add_co_u32 v12, vcc_lo, v24, v13
	s_wait_alu 0xfffd
	v_add_co_ci_u32_e32 v13, vcc_lo, v25, v14, vcc_lo
	v_sub_nc_u32_e32 v14, v18, v16
	v_fma_f16 v32, v32, 2.0, -v69
	v_mad_co_u64_u32 v[16:17], null, s17, v19, v[3:4]
	v_pack_b32_f16 v6, v78, v79
	s_delay_alu instid0(VALU_DEP_4) | instskip(NEXT) | instid1(VALU_DEP_4)
	v_mad_u32_u24 v17, 0x548, v21, v14
	v_pack_b32_f16 v20, v23, v32
	v_pack_b32_f16 v18, v75, v77
	v_mov_b32_e32 v3, v15
	s_clause 0x2
	global_store_b32 v[0:1], v6, off
	global_store_b32 v[4:5], v20, off
	global_store_b32 v[12:13], v18, off
	v_add_nc_u32_e32 v6, 0x152, v17
	v_add_nc_u32_e32 v18, 0x2a4, v17
	v_lshlrev_b64_e32 v[0:1], 2, v[2:3]
	v_mad_co_u64_u32 v[2:3], null, s16, v17, 0
	s_delay_alu instid0(VALU_DEP_4) | instskip(SKIP_1) | instid1(VALU_DEP_4)
	v_mad_co_u64_u32 v[4:5], null, s16, v6, 0
	v_dual_mov_b32 v12, v16 :: v_dual_add_nc_u32 v21, 0x3f6, v17
	v_add_co_u32 v0, vcc_lo, v24, v0
	s_wait_alu 0xfffd
	v_add_co_ci_u32_e32 v1, vcc_lo, v25, v1, vcc_lo
	s_delay_alu instid0(VALU_DEP_4)
	v_mad_co_u64_u32 v[13:14], null, s17, v17, v[3:4]
	v_mad_co_u64_u32 v[14:15], null, s16, v18, 0
	v_mad_co_u64_u32 v[16:17], null, s16, v21, 0
	v_pack_b32_f16 v20, v31, v69
	v_mad_co_u64_u32 v[5:6], null, s17, v6, v[5:6]
	v_mov_b32_e32 v3, v13
	v_lshlrev_b64_e32 v[11:12], 2, v[11:12]
	v_mov_b32_e32 v6, v15
	global_store_b32 v[0:1], v20, off
	v_mov_b32_e32 v0, v17
	v_lshlrev_b64_e32 v[1:2], 2, v[2:3]
	v_pack_b32_f16 v15, v51, v102
	v_mad_co_u64_u32 v[18:19], null, s17, v18, v[6:7]
	v_add_co_u32 v11, vcc_lo, v24, v11
	s_wait_alu 0xfffd
	v_add_co_ci_u32_e32 v12, vcc_lo, v25, v12, vcc_lo
	v_lshlrev_b64_e32 v[3:4], 2, v[4:5]
	v_mad_co_u64_u32 v[5:6], null, s17, v21, v[0:1]
	global_store_b32 v[11:12], v15, off
	v_mov_b32_e32 v15, v18
	v_add_co_u32 v1, vcc_lo, v24, v1
	s_wait_alu 0xfffd
	v_add_co_ci_u32_e32 v2, vcc_lo, v25, v2, vcc_lo
	v_mov_b32_e32 v17, v5
	v_lshlrev_b64_e32 v[11:12], 2, v[14:15]
	v_add_co_u32 v3, vcc_lo, v24, v3
	s_wait_alu 0xfffd
	v_add_co_ci_u32_e32 v4, vcc_lo, v25, v4, vcc_lo
	v_lshlrev_b64_e32 v[5:6], 2, v[16:17]
	s_delay_alu instid0(VALU_DEP_4)
	v_add_co_u32 v11, vcc_lo, v24, v11
	v_add_nc_u32_e32 v0, 0x138, v28
	v_fma_f16 v34, v34, 2.0, -v73
	s_wait_alu 0xfffd
	v_add_co_ci_u32_e32 v12, vcc_lo, v25, v12, vcc_lo
	v_add_co_u32 v5, vcc_lo, v24, v5
	s_wait_alu 0xfffd
	v_add_co_ci_u32_e32 v6, vcc_lo, v25, v6, vcc_lo
	v_pack_b32_f16 v13, v43, v74
	v_cmp_gt_u32_e32 vcc_lo, 0x152, v0
	v_pack_b32_f16 v14, v54, v34
	v_pack_b32_f16 v15, v76, v41
	;; [unrolled: 1-line block ×3, first 2 shown]
	s_clause 0x3
	global_store_b32 v[1:2], v13, off
	global_store_b32 v[3:4], v14, off
	global_store_b32 v[11:12], v15, off
	global_store_b32 v[5:6], v16, off
	s_and_b32 exec_lo, exec_lo, vcc_lo
	s_cbranch_execz .LBB0_20
; %bb.19:
	v_mul_i32_i24_e32 v6, 3, v45
	v_add_nc_u32_e32 v19, 0x52e, v28
	v_mad_co_u64_u32 v[4:5], null, s16, v0, 0
	s_delay_alu instid0(VALU_DEP_3) | instskip(NEXT) | instid1(VALU_DEP_3)
	v_lshlrev_b64_e32 v[1:2], 2, v[6:7]
	v_mad_co_u64_u32 v[13:14], null, s16, v19, 0
	v_add_nc_u32_e32 v18, 0x3dc, v28
	s_delay_alu instid0(VALU_DEP_3) | instskip(SKIP_1) | instid1(VALU_DEP_4)
	v_add_co_u32 v1, vcc_lo, s4, v1
	s_wait_alu 0xfffd
	v_add_co_ci_u32_e32 v2, vcc_lo, s5, v2, vcc_lo
	s_delay_alu instid0(VALU_DEP_3) | instskip(SKIP_3) | instid1(VALU_DEP_1)
	v_mad_co_u64_u32 v[11:12], null, s16, v18, 0
	v_add_nc_u32_e32 v17, 0x28a, v28
	global_load_b96 v[1:3], v[1:2], off offset:1344
	v_mad_co_u64_u32 v[6:7], null, s16, v17, 0
	v_mad_co_u64_u32 v[15:16], null, s17, v0, v[5:6]
	v_mov_b32_e32 v0, v12
	s_delay_alu instid0(VALU_DEP_3) | instskip(SKIP_1) | instid1(VALU_DEP_2)
	v_mad_co_u64_u32 v[16:17], null, s17, v17, v[7:8]
	v_mov_b32_e32 v5, v14
	v_mov_b32_e32 v7, v16
	s_wait_loadcnt 0x0
	v_mad_co_u64_u32 v[17:18], null, s17, v18, v[0:1]
	v_lshrrev_b32_e32 v0, 16, v8
	v_lshrrev_b32_e32 v16, 16, v2
	s_delay_alu instid0(VALU_DEP_3)
	v_mov_b32_e32 v12, v17
	v_mad_co_u64_u32 v[18:19], null, s17, v19, v[5:6]
	v_mov_b32_e32 v5, v15
	v_lshrrev_b32_e32 v15, 16, v1
	v_lshrrev_b32_e32 v17, 16, v3
	v_mul_f16_e32 v19, v35, v16
	v_mul_f16_e32 v16, v9, v16
	v_lshlrev_b64_e32 v[6:7], 2, v[6:7]
	v_mov_b32_e32 v14, v18
	v_mul_f16_e32 v18, v40, v15
	v_mul_f16_e32 v15, v0, v15
	;; [unrolled: 1-line block ×4, first 2 shown]
	v_fma_f16 v9, v9, v2, -v19
	v_fma_f16 v18, v0, v1, -v18
	v_fmac_f16_e32 v15, v40, v1
	v_fmac_f16_e32 v16, v35, v2
	v_fma_f16 v2, v10, v3, -v20
	v_fmac_f16_e32 v17, v36, v3
	v_lshlrev_b64_e32 v[0:1], 2, v[13:14]
	v_sub_f16_e32 v9, v8, v9
	v_sub_f16_e32 v10, v39, v16
	;; [unrolled: 1-line block ×4, first 2 shown]
	v_lshlrev_b64_e32 v[4:5], 2, v[4:5]
	v_fma_f16 v8, v8, 2.0, -v9
	v_fma_f16 v16, v39, 2.0, -v10
	;; [unrolled: 1-line block ×4, first 2 shown]
	v_lshlrev_b64_e32 v[11:12], 2, v[11:12]
	v_add_co_u32 v2, vcc_lo, v24, v4
	s_delay_alu instid0(VALU_DEP_4) | instskip(NEXT) | instid1(VALU_DEP_4)
	v_sub_f16_e32 v17, v8, v17
	v_sub_f16_e32 v15, v16, v15
	s_wait_alu 0xfffd
	v_add_co_ci_u32_e32 v3, vcc_lo, v25, v5, vcc_lo
	v_sub_f16_e32 v14, v9, v14
	v_add_f16_e32 v13, v10, v13
	v_add_co_u32 v4, vcc_lo, v24, v6
	s_wait_alu 0xfffd
	v_add_co_ci_u32_e32 v5, vcc_lo, v25, v7, vcc_lo
	v_add_co_u32 v6, vcc_lo, v24, v11
	v_fma_f16 v8, v8, 2.0, -v17
	v_fma_f16 v11, v16, 2.0, -v15
	;; [unrolled: 1-line block ×4, first 2 shown]
	s_wait_alu 0xfffd
	v_add_co_ci_u32_e32 v7, vcc_lo, v25, v12, vcc_lo
	v_pack_b32_f16 v8, v8, v11
	v_add_co_u32 v0, vcc_lo, v24, v0
	v_pack_b32_f16 v9, v9, v10
	v_pack_b32_f16 v10, v17, v15
	s_wait_alu 0xfffd
	v_add_co_ci_u32_e32 v1, vcc_lo, v25, v1, vcc_lo
	v_pack_b32_f16 v11, v14, v13
	s_clause 0x3
	global_store_b32 v[2:3], v8, off
	global_store_b32 v[4:5], v9, off
	;; [unrolled: 1-line block ×4, first 2 shown]
.LBB0_20:
	s_nop 0
	s_sendmsg sendmsg(MSG_DEALLOC_VGPRS)
	s_endpgm
	.section	.rodata,"a",@progbits
	.p2align	6, 0x0
	.amdhsa_kernel fft_rtc_fwd_len1352_factors_2_13_13_4_wgs_52_tpt_52_halfLds_half_op_CI_CI_sbrr_dirReg
		.amdhsa_group_segment_fixed_size 0
		.amdhsa_private_segment_fixed_size 0
		.amdhsa_kernarg_size 104
		.amdhsa_user_sgpr_count 2
		.amdhsa_user_sgpr_dispatch_ptr 0
		.amdhsa_user_sgpr_queue_ptr 0
		.amdhsa_user_sgpr_kernarg_segment_ptr 1
		.amdhsa_user_sgpr_dispatch_id 0
		.amdhsa_user_sgpr_private_segment_size 0
		.amdhsa_wavefront_size32 1
		.amdhsa_uses_dynamic_stack 0
		.amdhsa_enable_private_segment 0
		.amdhsa_system_sgpr_workgroup_id_x 1
		.amdhsa_system_sgpr_workgroup_id_y 0
		.amdhsa_system_sgpr_workgroup_id_z 0
		.amdhsa_system_sgpr_workgroup_info 0
		.amdhsa_system_vgpr_workitem_id 0
		.amdhsa_next_free_vgpr 124
		.amdhsa_next_free_sgpr 43
		.amdhsa_reserve_vcc 1
		.amdhsa_float_round_mode_32 0
		.amdhsa_float_round_mode_16_64 0
		.amdhsa_float_denorm_mode_32 3
		.amdhsa_float_denorm_mode_16_64 3
		.amdhsa_fp16_overflow 0
		.amdhsa_workgroup_processor_mode 1
		.amdhsa_memory_ordered 1
		.amdhsa_forward_progress 0
		.amdhsa_round_robin_scheduling 0
		.amdhsa_exception_fp_ieee_invalid_op 0
		.amdhsa_exception_fp_denorm_src 0
		.amdhsa_exception_fp_ieee_div_zero 0
		.amdhsa_exception_fp_ieee_overflow 0
		.amdhsa_exception_fp_ieee_underflow 0
		.amdhsa_exception_fp_ieee_inexact 0
		.amdhsa_exception_int_div_zero 0
	.end_amdhsa_kernel
	.text
.Lfunc_end0:
	.size	fft_rtc_fwd_len1352_factors_2_13_13_4_wgs_52_tpt_52_halfLds_half_op_CI_CI_sbrr_dirReg, .Lfunc_end0-fft_rtc_fwd_len1352_factors_2_13_13_4_wgs_52_tpt_52_halfLds_half_op_CI_CI_sbrr_dirReg
                                        ; -- End function
	.section	.AMDGPU.csdata,"",@progbits
; Kernel info:
; codeLenInByte = 23572
; NumSgprs: 45
; NumVgprs: 124
; ScratchSize: 0
; MemoryBound: 0
; FloatMode: 240
; IeeeMode: 1
; LDSByteSize: 0 bytes/workgroup (compile time only)
; SGPRBlocks: 5
; VGPRBlocks: 15
; NumSGPRsForWavesPerEU: 45
; NumVGPRsForWavesPerEU: 124
; Occupancy: 10
; WaveLimiterHint : 1
; COMPUTE_PGM_RSRC2:SCRATCH_EN: 0
; COMPUTE_PGM_RSRC2:USER_SGPR: 2
; COMPUTE_PGM_RSRC2:TRAP_HANDLER: 0
; COMPUTE_PGM_RSRC2:TGID_X_EN: 1
; COMPUTE_PGM_RSRC2:TGID_Y_EN: 0
; COMPUTE_PGM_RSRC2:TGID_Z_EN: 0
; COMPUTE_PGM_RSRC2:TIDIG_COMP_CNT: 0
	.text
	.p2alignl 7, 3214868480
	.fill 96, 4, 3214868480
	.type	__hip_cuid_ee13e5fab0bc4097,@object ; @__hip_cuid_ee13e5fab0bc4097
	.section	.bss,"aw",@nobits
	.globl	__hip_cuid_ee13e5fab0bc4097
__hip_cuid_ee13e5fab0bc4097:
	.byte	0                               ; 0x0
	.size	__hip_cuid_ee13e5fab0bc4097, 1

	.ident	"AMD clang version 19.0.0git (https://github.com/RadeonOpenCompute/llvm-project roc-6.4.0 25133 c7fe45cf4b819c5991fe208aaa96edf142730f1d)"
	.section	".note.GNU-stack","",@progbits
	.addrsig
	.addrsig_sym __hip_cuid_ee13e5fab0bc4097
	.amdgpu_metadata
---
amdhsa.kernels:
  - .args:
      - .actual_access:  read_only
        .address_space:  global
        .offset:         0
        .size:           8
        .value_kind:     global_buffer
      - .offset:         8
        .size:           8
        .value_kind:     by_value
      - .actual_access:  read_only
        .address_space:  global
        .offset:         16
        .size:           8
        .value_kind:     global_buffer
      - .actual_access:  read_only
        .address_space:  global
        .offset:         24
        .size:           8
        .value_kind:     global_buffer
      - .actual_access:  read_only
        .address_space:  global
        .offset:         32
        .size:           8
        .value_kind:     global_buffer
      - .offset:         40
        .size:           8
        .value_kind:     by_value
      - .actual_access:  read_only
        .address_space:  global
        .offset:         48
        .size:           8
        .value_kind:     global_buffer
      - .actual_access:  read_only
        .address_space:  global
        .offset:         56
        .size:           8
        .value_kind:     global_buffer
      - .offset:         64
        .size:           4
        .value_kind:     by_value
      - .actual_access:  read_only
        .address_space:  global
        .offset:         72
        .size:           8
        .value_kind:     global_buffer
      - .actual_access:  read_only
        .address_space:  global
        .offset:         80
        .size:           8
        .value_kind:     global_buffer
      - .actual_access:  read_only
        .address_space:  global
        .offset:         88
        .size:           8
        .value_kind:     global_buffer
      - .actual_access:  write_only
        .address_space:  global
        .offset:         96
        .size:           8
        .value_kind:     global_buffer
    .group_segment_fixed_size: 0
    .kernarg_segment_align: 8
    .kernarg_segment_size: 104
    .language:       OpenCL C
    .language_version:
      - 2
      - 0
    .max_flat_workgroup_size: 52
    .name:           fft_rtc_fwd_len1352_factors_2_13_13_4_wgs_52_tpt_52_halfLds_half_op_CI_CI_sbrr_dirReg
    .private_segment_fixed_size: 0
    .sgpr_count:     45
    .sgpr_spill_count: 0
    .symbol:         fft_rtc_fwd_len1352_factors_2_13_13_4_wgs_52_tpt_52_halfLds_half_op_CI_CI_sbrr_dirReg.kd
    .uniform_work_group_size: 1
    .uses_dynamic_stack: false
    .vgpr_count:     124
    .vgpr_spill_count: 0
    .wavefront_size: 32
    .workgroup_processor_mode: 1
amdhsa.target:   amdgcn-amd-amdhsa--gfx1201
amdhsa.version:
  - 1
  - 2
...

	.end_amdgpu_metadata
